;; amdgpu-corpus repo=ROCm/rocFFT kind=compiled arch=gfx1201 opt=O3
	.text
	.amdgcn_target "amdgcn-amd-amdhsa--gfx1201"
	.amdhsa_code_object_version 6
	.protected	fft_rtc_back_len3750_factors_3_5_5_10_5_wgs_125_tpt_125_halfLds_dp_ip_CI_unitstride_sbrr_dirReg ; -- Begin function fft_rtc_back_len3750_factors_3_5_5_10_5_wgs_125_tpt_125_halfLds_dp_ip_CI_unitstride_sbrr_dirReg
	.globl	fft_rtc_back_len3750_factors_3_5_5_10_5_wgs_125_tpt_125_halfLds_dp_ip_CI_unitstride_sbrr_dirReg
	.p2align	8
	.type	fft_rtc_back_len3750_factors_3_5_5_10_5_wgs_125_tpt_125_halfLds_dp_ip_CI_unitstride_sbrr_dirReg,@function
fft_rtc_back_len3750_factors_3_5_5_10_5_wgs_125_tpt_125_halfLds_dp_ip_CI_unitstride_sbrr_dirReg: ; @fft_rtc_back_len3750_factors_3_5_5_10_5_wgs_125_tpt_125_halfLds_dp_ip_CI_unitstride_sbrr_dirReg
; %bb.0:
	s_clause 0x2
	s_load_b128 s[4:7], s[0:1], 0x0
	s_load_b64 s[8:9], s[0:1], 0x50
	s_load_b64 s[10:11], s[0:1], 0x18
	v_mul_u32_u24_e32 v1, 0x20d, v0
	v_mov_b32_e32 v3, 0
	s_delay_alu instid0(VALU_DEP_2) | instskip(NEXT) | instid1(VALU_DEP_1)
	v_lshrrev_b32_e32 v1, 16, v1
	v_add_nc_u32_e32 v5, ttmp9, v1
	v_mov_b32_e32 v1, 0
	v_mov_b32_e32 v2, 0
	;; [unrolled: 1-line block ×3, first 2 shown]
	s_wait_kmcnt 0x0
	v_cmp_lt_u64_e64 s2, s[6:7], 2
	s_delay_alu instid0(VALU_DEP_1)
	s_and_b32 vcc_lo, exec_lo, s2
	s_cbranch_vccnz .LBB0_8
; %bb.1:
	s_load_b64 s[2:3], s[0:1], 0x10
	v_mov_b32_e32 v1, 0
	v_mov_b32_e32 v2, 0
	s_add_nc_u64 s[12:13], s[10:11], 8
	s_mov_b64 s[14:15], 1
	s_wait_kmcnt 0x0
	s_add_nc_u64 s[16:17], s[2:3], 8
	s_mov_b32 s3, 0
.LBB0_2:                                ; =>This Inner Loop Header: Depth=1
	s_load_b64 s[18:19], s[16:17], 0x0
                                        ; implicit-def: $vgpr7_vgpr8
	s_mov_b32 s2, exec_lo
	s_wait_kmcnt 0x0
	v_or_b32_e32 v4, s19, v6
	s_delay_alu instid0(VALU_DEP_1)
	v_cmpx_ne_u64_e32 0, v[3:4]
	s_wait_alu 0xfffe
	s_xor_b32 s20, exec_lo, s2
	s_cbranch_execz .LBB0_4
; %bb.3:                                ;   in Loop: Header=BB0_2 Depth=1
	s_cvt_f32_u32 s2, s18
	s_cvt_f32_u32 s21, s19
	s_sub_nc_u64 s[24:25], 0, s[18:19]
	s_wait_alu 0xfffe
	s_delay_alu instid0(SALU_CYCLE_1) | instskip(SKIP_1) | instid1(SALU_CYCLE_2)
	s_fmamk_f32 s2, s21, 0x4f800000, s2
	s_wait_alu 0xfffe
	v_s_rcp_f32 s2, s2
	s_delay_alu instid0(TRANS32_DEP_1) | instskip(SKIP_1) | instid1(SALU_CYCLE_2)
	s_mul_f32 s2, s2, 0x5f7ffffc
	s_wait_alu 0xfffe
	s_mul_f32 s21, s2, 0x2f800000
	s_wait_alu 0xfffe
	s_delay_alu instid0(SALU_CYCLE_2) | instskip(SKIP_1) | instid1(SALU_CYCLE_2)
	s_trunc_f32 s21, s21
	s_wait_alu 0xfffe
	s_fmamk_f32 s2, s21, 0xcf800000, s2
	s_cvt_u32_f32 s23, s21
	s_wait_alu 0xfffe
	s_delay_alu instid0(SALU_CYCLE_1) | instskip(SKIP_1) | instid1(SALU_CYCLE_2)
	s_cvt_u32_f32 s22, s2
	s_wait_alu 0xfffe
	s_mul_u64 s[26:27], s[24:25], s[22:23]
	s_wait_alu 0xfffe
	s_mul_hi_u32 s29, s22, s27
	s_mul_i32 s28, s22, s27
	s_mul_hi_u32 s2, s22, s26
	s_mul_i32 s30, s23, s26
	s_wait_alu 0xfffe
	s_add_nc_u64 s[28:29], s[2:3], s[28:29]
	s_mul_hi_u32 s21, s23, s26
	s_mul_hi_u32 s31, s23, s27
	s_add_co_u32 s2, s28, s30
	s_wait_alu 0xfffe
	s_add_co_ci_u32 s2, s29, s21
	s_mul_i32 s26, s23, s27
	s_add_co_ci_u32 s27, s31, 0
	s_wait_alu 0xfffe
	s_add_nc_u64 s[26:27], s[2:3], s[26:27]
	s_wait_alu 0xfffe
	v_add_co_u32 v4, s2, s22, s26
	s_delay_alu instid0(VALU_DEP_1) | instskip(SKIP_1) | instid1(VALU_DEP_1)
	s_cmp_lg_u32 s2, 0
	s_add_co_ci_u32 s23, s23, s27
	v_readfirstlane_b32 s22, v4
	s_wait_alu 0xfffe
	s_delay_alu instid0(VALU_DEP_1)
	s_mul_u64 s[24:25], s[24:25], s[22:23]
	s_wait_alu 0xfffe
	s_mul_hi_u32 s27, s22, s25
	s_mul_i32 s26, s22, s25
	s_mul_hi_u32 s2, s22, s24
	s_mul_i32 s28, s23, s24
	s_wait_alu 0xfffe
	s_add_nc_u64 s[26:27], s[2:3], s[26:27]
	s_mul_hi_u32 s21, s23, s24
	s_mul_hi_u32 s22, s23, s25
	s_wait_alu 0xfffe
	s_add_co_u32 s2, s26, s28
	s_add_co_ci_u32 s2, s27, s21
	s_mul_i32 s24, s23, s25
	s_add_co_ci_u32 s25, s22, 0
	s_wait_alu 0xfffe
	s_add_nc_u64 s[24:25], s[2:3], s[24:25]
	s_wait_alu 0xfffe
	v_add_co_u32 v4, s2, v4, s24
	s_delay_alu instid0(VALU_DEP_1) | instskip(SKIP_1) | instid1(VALU_DEP_1)
	s_cmp_lg_u32 s2, 0
	s_add_co_ci_u32 s2, s23, s25
	v_mul_hi_u32 v13, v5, v4
	s_wait_alu 0xfffe
	v_mad_co_u64_u32 v[7:8], null, v5, s2, 0
	v_mad_co_u64_u32 v[9:10], null, v6, v4, 0
	;; [unrolled: 1-line block ×3, first 2 shown]
	s_delay_alu instid0(VALU_DEP_3) | instskip(SKIP_1) | instid1(VALU_DEP_4)
	v_add_co_u32 v4, vcc_lo, v13, v7
	s_wait_alu 0xfffd
	v_add_co_ci_u32_e32 v7, vcc_lo, 0, v8, vcc_lo
	s_delay_alu instid0(VALU_DEP_2) | instskip(SKIP_1) | instid1(VALU_DEP_2)
	v_add_co_u32 v4, vcc_lo, v4, v9
	s_wait_alu 0xfffd
	v_add_co_ci_u32_e32 v4, vcc_lo, v7, v10, vcc_lo
	s_wait_alu 0xfffd
	v_add_co_ci_u32_e32 v7, vcc_lo, 0, v12, vcc_lo
	s_delay_alu instid0(VALU_DEP_2) | instskip(SKIP_1) | instid1(VALU_DEP_2)
	v_add_co_u32 v4, vcc_lo, v4, v11
	s_wait_alu 0xfffd
	v_add_co_ci_u32_e32 v9, vcc_lo, 0, v7, vcc_lo
	s_delay_alu instid0(VALU_DEP_2) | instskip(SKIP_1) | instid1(VALU_DEP_3)
	v_mul_lo_u32 v10, s19, v4
	v_mad_co_u64_u32 v[7:8], null, s18, v4, 0
	v_mul_lo_u32 v11, s18, v9
	s_delay_alu instid0(VALU_DEP_2) | instskip(NEXT) | instid1(VALU_DEP_2)
	v_sub_co_u32 v7, vcc_lo, v5, v7
	v_add3_u32 v8, v8, v11, v10
	s_delay_alu instid0(VALU_DEP_1) | instskip(SKIP_1) | instid1(VALU_DEP_1)
	v_sub_nc_u32_e32 v10, v6, v8
	s_wait_alu 0xfffd
	v_subrev_co_ci_u32_e64 v10, s2, s19, v10, vcc_lo
	v_add_co_u32 v11, s2, v4, 2
	s_wait_alu 0xf1ff
	v_add_co_ci_u32_e64 v12, s2, 0, v9, s2
	v_sub_co_u32 v13, s2, v7, s18
	v_sub_co_ci_u32_e32 v8, vcc_lo, v6, v8, vcc_lo
	s_wait_alu 0xf1ff
	v_subrev_co_ci_u32_e64 v10, s2, 0, v10, s2
	s_delay_alu instid0(VALU_DEP_3) | instskip(NEXT) | instid1(VALU_DEP_3)
	v_cmp_le_u32_e32 vcc_lo, s18, v13
	v_cmp_eq_u32_e64 s2, s19, v8
	s_wait_alu 0xfffd
	v_cndmask_b32_e64 v13, 0, -1, vcc_lo
	v_cmp_le_u32_e32 vcc_lo, s19, v10
	s_wait_alu 0xfffd
	v_cndmask_b32_e64 v14, 0, -1, vcc_lo
	v_cmp_le_u32_e32 vcc_lo, s18, v7
	;; [unrolled: 3-line block ×3, first 2 shown]
	s_wait_alu 0xfffd
	v_cndmask_b32_e64 v15, 0, -1, vcc_lo
	v_cmp_eq_u32_e32 vcc_lo, s19, v10
	s_wait_alu 0xf1ff
	s_delay_alu instid0(VALU_DEP_2)
	v_cndmask_b32_e64 v7, v15, v7, s2
	s_wait_alu 0xfffd
	v_cndmask_b32_e32 v10, v14, v13, vcc_lo
	v_add_co_u32 v13, vcc_lo, v4, 1
	s_wait_alu 0xfffd
	v_add_co_ci_u32_e32 v14, vcc_lo, 0, v9, vcc_lo
	s_delay_alu instid0(VALU_DEP_3) | instskip(SKIP_2) | instid1(VALU_DEP_3)
	v_cmp_ne_u32_e32 vcc_lo, 0, v10
	s_wait_alu 0xfffd
	v_cndmask_b32_e32 v10, v13, v11, vcc_lo
	v_cndmask_b32_e32 v8, v14, v12, vcc_lo
	v_cmp_ne_u32_e32 vcc_lo, 0, v7
	s_wait_alu 0xfffd
	s_delay_alu instid0(VALU_DEP_2)
	v_dual_cndmask_b32 v7, v4, v10 :: v_dual_cndmask_b32 v8, v9, v8
.LBB0_4:                                ;   in Loop: Header=BB0_2 Depth=1
	s_wait_alu 0xfffe
	s_and_not1_saveexec_b32 s2, s20
	s_cbranch_execz .LBB0_6
; %bb.5:                                ;   in Loop: Header=BB0_2 Depth=1
	v_cvt_f32_u32_e32 v4, s18
	s_sub_co_i32 s20, 0, s18
	s_delay_alu instid0(VALU_DEP_1) | instskip(NEXT) | instid1(TRANS32_DEP_1)
	v_rcp_iflag_f32_e32 v4, v4
	v_mul_f32_e32 v4, 0x4f7ffffe, v4
	s_delay_alu instid0(VALU_DEP_1) | instskip(SKIP_1) | instid1(VALU_DEP_1)
	v_cvt_u32_f32_e32 v4, v4
	s_wait_alu 0xfffe
	v_mul_lo_u32 v7, s20, v4
	s_delay_alu instid0(VALU_DEP_1) | instskip(NEXT) | instid1(VALU_DEP_1)
	v_mul_hi_u32 v7, v4, v7
	v_add_nc_u32_e32 v4, v4, v7
	s_delay_alu instid0(VALU_DEP_1) | instskip(NEXT) | instid1(VALU_DEP_1)
	v_mul_hi_u32 v4, v5, v4
	v_mul_lo_u32 v7, v4, s18
	v_add_nc_u32_e32 v8, 1, v4
	s_delay_alu instid0(VALU_DEP_2) | instskip(NEXT) | instid1(VALU_DEP_1)
	v_sub_nc_u32_e32 v7, v5, v7
	v_subrev_nc_u32_e32 v9, s18, v7
	v_cmp_le_u32_e32 vcc_lo, s18, v7
	s_wait_alu 0xfffd
	s_delay_alu instid0(VALU_DEP_2) | instskip(NEXT) | instid1(VALU_DEP_1)
	v_dual_cndmask_b32 v7, v7, v9 :: v_dual_cndmask_b32 v4, v4, v8
	v_cmp_le_u32_e32 vcc_lo, s18, v7
	s_delay_alu instid0(VALU_DEP_2) | instskip(SKIP_1) | instid1(VALU_DEP_1)
	v_add_nc_u32_e32 v8, 1, v4
	s_wait_alu 0xfffd
	v_dual_cndmask_b32 v7, v4, v8 :: v_dual_mov_b32 v8, v3
.LBB0_6:                                ;   in Loop: Header=BB0_2 Depth=1
	s_wait_alu 0xfffe
	s_or_b32 exec_lo, exec_lo, s2
	s_load_b64 s[20:21], s[12:13], 0x0
	s_delay_alu instid0(VALU_DEP_1)
	v_mul_lo_u32 v4, v8, s18
	v_mul_lo_u32 v11, v7, s19
	v_mad_co_u64_u32 v[9:10], null, v7, s18, 0
	s_add_nc_u64 s[14:15], s[14:15], 1
	s_add_nc_u64 s[12:13], s[12:13], 8
	s_wait_alu 0xfffe
	v_cmp_ge_u64_e64 s2, s[14:15], s[6:7]
	s_add_nc_u64 s[16:17], s[16:17], 8
	s_delay_alu instid0(VALU_DEP_2) | instskip(NEXT) | instid1(VALU_DEP_3)
	v_add3_u32 v4, v10, v11, v4
	v_sub_co_u32 v5, vcc_lo, v5, v9
	s_wait_alu 0xfffd
	s_delay_alu instid0(VALU_DEP_2) | instskip(SKIP_3) | instid1(VALU_DEP_2)
	v_sub_co_ci_u32_e32 v4, vcc_lo, v6, v4, vcc_lo
	s_and_b32 vcc_lo, exec_lo, s2
	s_wait_kmcnt 0x0
	v_mul_lo_u32 v6, s21, v5
	v_mul_lo_u32 v4, s20, v4
	v_mad_co_u64_u32 v[1:2], null, s20, v5, v[1:2]
	s_delay_alu instid0(VALU_DEP_1)
	v_add3_u32 v2, v6, v2, v4
	s_wait_alu 0xfffe
	s_cbranch_vccnz .LBB0_9
; %bb.7:                                ;   in Loop: Header=BB0_2 Depth=1
	v_dual_mov_b32 v5, v7 :: v_dual_mov_b32 v6, v8
	s_branch .LBB0_2
.LBB0_8:
	v_dual_mov_b32 v8, v6 :: v_dual_mov_b32 v7, v5
.LBB0_9:
	s_lshl_b64 s[2:3], s[6:7], 3
	v_mul_hi_u32 v5, 0x20c49bb, v0
	s_wait_alu 0xfffe
	s_add_nc_u64 s[2:3], s[10:11], s[2:3]
                                        ; implicit-def: $vgpr96_vgpr97
                                        ; implicit-def: $vgpr112_vgpr113
                                        ; implicit-def: $vgpr104_vgpr105
                                        ; implicit-def: $vgpr100_vgpr101
                                        ; implicit-def: $vgpr108_vgpr109
                                        ; implicit-def: $vgpr92_vgpr93
                                        ; implicit-def: $vgpr72_vgpr73
                                        ; implicit-def: $vgpr88_vgpr89
                                        ; implicit-def: $vgpr80_vgpr81
                                        ; implicit-def: $vgpr76_vgpr77
                                        ; implicit-def: $vgpr84_vgpr85
                                        ; implicit-def: $vgpr68_vgpr69
                                        ; implicit-def: $vgpr56_vgpr57
                                        ; implicit-def: $vgpr60_vgpr61
                                        ; implicit-def: $vgpr48_vgpr49
                                        ; implicit-def: $vgpr44_vgpr45
                                        ; implicit-def: $vgpr52_vgpr53
                                        ; implicit-def: $vgpr36_vgpr37
                                        ; implicit-def: $vgpr28_vgpr29
                                        ; implicit-def: $vgpr24_vgpr25
                                        ; implicit-def: $vgpr16_vgpr17
                                        ; implicit-def: $vgpr64_vgpr65
                                        ; implicit-def: $vgpr120_vgpr121
                                        ; implicit-def: $vgpr40_vgpr41
                                        ; implicit-def: $vgpr32_vgpr33
                                        ; implicit-def: $vgpr116_vgpr117
                                        ; implicit-def: $vgpr20_vgpr21
                                        ; implicit-def: $vgpr12_vgpr13
	s_load_b64 s[2:3], s[2:3], 0x0
	s_load_b64 s[0:1], s[0:1], 0x20
	s_wait_kmcnt 0x0
	v_mul_lo_u32 v3, s2, v8
	v_mul_lo_u32 v4, s3, v7
	v_mad_co_u64_u32 v[1:2], null, s2, v7, v[1:2]
	v_cmp_gt_u64_e32 vcc_lo, s[0:1], v[7:8]
                                        ; implicit-def: $vgpr8_vgpr9
	s_delay_alu instid0(VALU_DEP_2) | instskip(SKIP_1) | instid1(VALU_DEP_2)
	v_add3_u32 v2, v4, v2, v3
	v_mul_u32_u24_e32 v3, 0x7d, v5
                                        ; implicit-def: $vgpr4_vgpr5
	v_lshlrev_b64_e32 v[172:173], 4, v[1:2]
	s_delay_alu instid0(VALU_DEP_2)
	v_sub_nc_u32_e32 v174, v0, v3
	s_and_saveexec_b32 s1, vcc_lo
; %bb.10:
	v_mov_b32_e32 v175, 0
	s_delay_alu instid0(VALU_DEP_3) | instskip(SKIP_2) | instid1(VALU_DEP_3)
	v_add_co_u32 v2, s0, s8, v172
	s_wait_alu 0xf1ff
	v_add_co_ci_u32_e64 v3, s0, s9, v173, s0
	v_lshlrev_b64_e32 v[0:1], 4, v[174:175]
	s_delay_alu instid0(VALU_DEP_1) | instskip(SKIP_1) | instid1(VALU_DEP_2)
	v_add_co_u32 v0, s0, v2, v0
	s_wait_alu 0xf1ff
	v_add_co_ci_u32_e64 v1, s0, v3, v1, s0
	s_clause 0x1d
	global_load_b128 v[2:5], v[0:1], off
	global_load_b128 v[18:21], v[0:1], off offset:2000
	global_load_b128 v[10:13], v[0:1], off offset:20000
	;; [unrolled: 1-line block ×29, first 2 shown]
; %bb.11:
	s_wait_alu 0xfffe
	s_or_b32 exec_lo, exec_lo, s1
	s_wait_loadcnt 0x18
	v_add_f64_e32 v[0:1], v[30:31], v[114:115]
	s_wait_loadcnt 0x13
	v_add_f64_e32 v[122:123], v[62:63], v[118:119]
	;; [unrolled: 2-line block ×4, first 2 shown]
	v_add_f64_e32 v[128:129], v[6:7], v[10:11]
	s_wait_loadcnt 0xc
	v_add_f64_e32 v[130:131], v[54:55], v[58:59]
	s_wait_loadcnt 0x7
	;; [unrolled: 2-line block ×5, first 2 shown]
	v_add_f64_e32 v[138:139], v[94:95], v[110:111]
	v_add_f64_e32 v[140:141], v[114:115], v[18:19]
	v_add_f64_e64 v[142:143], v[116:117], -v[32:33]
	v_add_f64_e32 v[152:153], v[50:51], v[34:35]
	v_add_f64_e32 v[162:163], v[82:83], v[66:67]
	v_add_f64_e32 v[144:145], v[118:119], v[38:39]
	v_add_f64_e64 v[146:147], v[120:121], -v[64:65]
	v_add_f64_e32 v[158:159], v[10:11], v[2:3]
	;; [unrolled: 4-line block ×3, first 2 shown]
	v_add_f64_e32 v[166:167], v[106:107], v[90:91]
	v_add_f64_e64 v[154:155], v[52:53], -v[44:45]
	v_add_f64_e64 v[156:157], v[12:13], -v[8:9]
	s_mov_b32 s0, 0xe8584caa
	s_mov_b32 s1, 0xbfebb67a
	v_add_f64_e64 v[114:115], v[114:115], -v[30:31]
	v_add_f64_e64 v[118:119], v[118:119], -v[62:63]
	s_mov_b32 s3, 0x3febb67a
	s_wait_alu 0xfffe
	s_mov_b32 s2, s0
	v_mad_u32_u24 v175, v174, 24, 0
	v_add_f64_e64 v[10:11], v[10:11], -v[6:7]
	v_add_f64_e64 v[58:59], v[58:59], -v[54:55]
	v_lshl_add_u32 v195, v174, 3, 0
	v_and_b32_e32 v185, 0xff, v174
	v_add_nc_u32_e32 v176, 0xbb8, v175
	v_add_nc_u32_e32 v177, 0x1770, v175
	v_add_nc_u32_e32 v178, 0x2328, v175
	v_fma_f64 v[0:1], v[0:1], -0.5, v[18:19]
	v_fma_f64 v[18:19], v[122:123], -0.5, v[38:39]
	;; [unrolled: 1-line block ×5, first 2 shown]
	v_add_f64_e64 v[122:123], v[60:61], -v[56:57]
	v_add_f64_e64 v[124:125], v[84:85], -v[76:77]
	v_fma_f64 v[46:47], v[130:131], -0.5, v[46:47]
	v_add_f64_e64 v[126:127], v[88:89], -v[72:73]
	v_fma_f64 v[66:67], v[132:133], -0.5, v[66:67]
	v_fma_f64 v[78:79], v[134:135], -0.5, v[78:79]
	v_add_f64_e64 v[128:129], v[108:109], -v[100:101]
	v_fma_f64 v[90:91], v[136:137], -0.5, v[90:91]
	v_add_f64_e32 v[132:133], v[110:111], v[102:103]
	v_add_f64_e64 v[134:135], v[112:113], -v[96:97]
	v_fma_f64 v[102:103], v[138:139], -0.5, v[102:103]
	v_add_f64_e32 v[30:31], v[30:31], v[140:141]
	v_add_f64_e32 v[140:141], v[42:43], v[152:153]
	v_add_f64_e32 v[152:153], v[74:75], v[162:163]
	v_add_f64_e32 v[62:63], v[62:63], v[144:145]
	v_add_f64_e32 v[144:145], v[6:7], v[158:159]
	v_add_f64_e32 v[158:159], v[70:71], v[164:165]
	v_add_f64_e32 v[138:139], v[26:27], v[148:149]
	v_add_f64_e32 v[148:149], v[54:55], v[160:161]
	v_add_f64_e32 v[160:161], v[98:99], v[166:167]
	v_add_f64_e32 v[38:39], v[116:117], v[20:21]
	v_add_f64_e32 v[116:117], v[32:33], v[116:117]
	v_add_f64_e32 v[136:137], v[8:9], v[12:13]
	v_add_f64_e32 v[130:131], v[120:121], v[40:41]
	v_add_f64_e32 v[120:121], v[64:65], v[120:121]
	v_add_nc_u32_e32 v179, 0x2ee0, v175
	v_add_nc_u32_e32 v180, 0x3aa0, v175
	;; [unrolled: 1-line block ×6, first 2 shown]
	v_add_f64_e32 v[12:13], v[12:13], v[4:5]
	v_add_f64_e64 v[74:75], v[82:83], -v[74:75]
	v_fma_f64 v[162:163], v[142:143], s[0:1], v[0:1]
	v_fma_f64 v[164:165], v[146:147], s[0:1], v[18:19]
	;; [unrolled: 1-line block ×5, first 2 shown]
	s_wait_alu 0xfffe
	v_fma_f64 v[2:3], v[156:157], s[2:3], v[2:3]
	v_fma_f64 v[0:1], v[142:143], s[2:3], v[0:1]
	;; [unrolled: 1-line block ×10, first 2 shown]
	v_add_f64_e32 v[150:151], v[28:29], v[24:25]
	v_fma_f64 v[78:79], v[126:127], s[2:3], v[78:79]
	v_fma_f64 v[146:147], v[128:129], s[0:1], v[90:91]
	;; [unrolled: 1-line block ×3, first 2 shown]
	v_add_f64_e32 v[128:129], v[44:45], v[52:53]
	v_add_f64_e32 v[132:133], v[94:95], v[132:133]
	v_fma_f64 v[126:127], v[134:135], s[0:1], v[102:103]
	v_fma_f64 v[102:103], v[134:135], s[2:3], v[102:103]
	v_add_f64_e32 v[134:135], v[56:57], v[60:61]
	v_add_f64_e32 v[154:155], v[76:77], v[84:85]
	v_add_f64_e32 v[156:157], v[32:33], v[38:39]
	v_fma_f64 v[32:33], v[116:117], -0.5, v[20:21]
	v_add_f64_e32 v[20:21], v[96:97], v[112:113]
	v_add_f64_e32 v[60:61], v[60:61], v[48:49]
	v_fma_f64 v[38:39], v[120:121], -0.5, v[40:41]
	v_add_f64_e32 v[82:83], v[108:109], v[92:93]
	v_add_f64_e64 v[70:71], v[86:87], -v[70:71]
	v_add_f64_e64 v[94:95], v[110:111], -v[94:95]
	v_add_f64_e32 v[64:65], v[64:65], v[130:131]
	v_add_nc_u32_e32 v212, 0x7d, v174
	v_add_nc_u32_e32 v200, 0x1400, v195
	v_add_nc_u32_e32 v204, 0x4c00, v195
	v_add_nc_u32_e32 v207, 0x6c00, v195
	ds_store_2addr_b64 v176, v[30:31], v[162:163] offset1:1
	ds_store_2addr_b64 v177, v[62:63], v[164:165] offset1:1
	;; [unrolled: 1-line block ×5, first 2 shown]
	ds_store_b64 v175, v[2:3] offset:16
	ds_store_b64 v175, v[0:1] offset:3016
	;; [unrolled: 1-line block ×6, first 2 shown]
	ds_store_2addr_b64 v180, v[142:143], v[46:47] offset1:1
	ds_store_b64 v175, v[152:153] offset:18000
	ds_store_2addr_b64 v181, v[122:123], v[66:67] offset1:1
	ds_store_2addr_b64 v182, v[158:159], v[124:125] offset1:1
	;; [unrolled: 1-line block ×3, first 2 shown]
	v_add_f64_e32 v[14:15], v[72:73], v[88:89]
	v_add_f64_e32 v[18:19], v[100:101], v[108:109]
	v_fma_f64 v[30:31], v[136:137], -0.5, v[4:5]
	ds_store_b64 v175, v[78:79] offset:21016
	ds_store_b64 v175, v[90:91] offset:24016
	;; [unrolled: 1-line block ×3, first 2 shown]
	ds_store_2addr_b64 v186, v[126:127], v[102:103] offset1:1
	v_add_f64_e32 v[34:35], v[24:25], v[16:17]
	v_add_f64_e64 v[46:47], v[22:23], -v[26:27]
	v_fma_f64 v[62:63], v[150:151], -0.5, v[16:17]
	v_add_f64_e32 v[78:79], v[84:85], v[68:69]
	v_add_f64_e32 v[66:67], v[52:53], v[36:37]
	v_add_f64_e64 v[84:85], v[50:51], -v[42:43]
	v_fma_f64 v[36:37], v[128:129], -0.5, v[36:37]
	v_add_f64_e32 v[88:89], v[88:89], v[80:81]
	v_fma_f64 v[90:91], v[134:135], -0.5, v[48:49]
	v_fma_f64 v[68:69], v[154:155], -0.5, v[68:69]
	v_fma_f64 v[102:103], v[114:115], s[2:3], v[32:33]
	v_add_f64_e32 v[60:61], v[56:57], v[60:61]
	v_fma_f64 v[114:115], v[114:115], s[0:1], v[32:33]
	v_add_f64_e32 v[82:83], v[100:101], v[82:83]
	v_and_b32_e32 v190, 0xff, v212
	v_add_nc_u32_e32 v201, 0x2c00, v195
	v_add_nc_u32_e32 v205, 0x6400, v195
	;; [unrolled: 1-line block ×6, first 2 shown]
	v_fma_f64 v[14:15], v[14:15], -0.5, v[80:81]
	v_add_f64_e64 v[80:81], v[106:107], -v[98:99]
	v_fma_f64 v[86:87], v[18:19], -0.5, v[92:93]
	v_add_f64_e32 v[92:93], v[112:113], v[104:105]
	v_fma_f64 v[98:99], v[20:21], -0.5, v[104:105]
	v_add_f64_e32 v[106:107], v[8:9], v[12:13]
	v_fma_f64 v[110:111], v[10:11], s[2:3], v[30:31]
	v_fma_f64 v[104:105], v[118:119], s[2:3], v[38:39]
	;; [unrolled: 1-line block ×4, first 2 shown]
	v_add_nc_u32_e32 v196, 0x400, v195
	v_add_nc_u32_e32 v208, 0x3c00, v195
	global_wb scope:SCOPE_SE
	s_wait_dscnt 0x0
	s_barrier_signal -1
	s_barrier_wait -1
	global_inv scope:SCOPE_SE
	ds_load_2addr_b64 v[0:3], v195 offset1:125
	v_add_f64_e32 v[108:109], v[28:29], v[34:35]
	v_add_nc_u32_e32 v202, 0x1c00, v195
	v_add_nc_u32_e32 v203, 0x3400, v195
	v_add_f64_e32 v[76:77], v[76:77], v[78:79]
	v_fma_f64 v[78:79], v[46:47], s[2:3], v[62:63]
	v_add_f64_e32 v[66:67], v[44:45], v[66:67]
	v_fma_f64 v[116:117], v[84:85], s[2:3], v[36:37]
	;; [unrolled: 2-line block ×3, first 2 shown]
	v_fma_f64 v[90:91], v[58:59], s[0:1], v[90:91]
	v_fma_f64 v[62:63], v[46:47], s[0:1], v[62:63]
	;; [unrolled: 1-line block ×5, first 2 shown]
	v_add_nc_u32_e32 v209, 0x5400, v195
	ds_load_2addr_b64 v[52:55], v200 offset0:110 offset1:235
	ds_load_2addr_b64 v[48:51], v201 offset0:92 offset1:217
	;; [unrolled: 1-line block ×7, first 2 shown]
	v_add_nc_u32_e32 v213, 0xfa, v174
	v_add_nc_u32_e32 v214, 0x177, v174
	;; [unrolled: 1-line block ×4, first 2 shown]
	s_mov_b32 s12, 0x134454ff
	v_fma_f64 v[74:75], v[70:71], s[2:3], v[14:15]
	v_fma_f64 v[70:71], v[70:71], s[0:1], v[14:15]
	;; [unrolled: 1-line block ×4, first 2 shown]
	v_add_f64_e32 v[92:93], v[96:97], v[92:93]
	v_fma_f64 v[86:87], v[94:95], s[2:3], v[98:99]
	v_fma_f64 v[94:95], v[94:95], s[0:1], v[98:99]
	v_mul_lo_u16 v96, 0xab, v185
	ds_load_2addr_b64 v[44:47], v204 offset0:68 offset1:193
	ds_load_2addr_b64 v[36:39], v205 offset0:50 offset1:175
	;; [unrolled: 1-line block ×7, first 2 shown]
	global_wb scope:SCOPE_SE
	s_wait_dscnt 0x0
	s_barrier_signal -1
	s_barrier_wait -1
	global_inv scope:SCOPE_SE
	ds_store_2addr_b64 v175, v[106:107], v[110:111] offset1:1
	ds_store_b64 v175, v[112:113] offset:16
	v_lshrrev_b16 v183, 9, v96
	ds_store_2addr_b64 v176, v[156:157], v[102:103] offset1:1
	ds_store_2addr_b64 v177, v[64:65], v[104:105] offset1:1
	;; [unrolled: 1-line block ×4, first 2 shown]
	v_mul_lo_u16 v65, 0xab, v190
	v_mul_lo_u16 v64, v183, 3
	ds_store_b64 v175, v[114:115] offset:3016
	ds_store_b64 v175, v[118:119] offset:6016
	;; [unrolled: 1-line block ×4, first 2 shown]
	v_lshrrev_b16 v193, 9, v65
	ds_store_b64 v175, v[60:61] offset:15000
	ds_store_2addr_b64 v180, v[88:89], v[90:91] offset1:1
	v_sub_nc_u16 v60, v174, v64
	ds_store_b64 v175, v[76:77] offset:18000
	v_and_b32_e32 v189, 0xffff, v213
	v_mul_lo_u16 v61, v193, 3
	v_and_b32_e32 v188, 0xffff, v210
	v_and_b32_e32 v192, 0xff, v60
	ds_store_2addr_b64 v181, v[100:101], v[68:69] offset1:1
	ds_store_2addr_b64 v182, v[72:73], v[74:75] offset1:1
	;; [unrolled: 1-line block ×3, first 2 shown]
	v_sub_nc_u16 v60, v212, v61
	v_lshlrev_b32_e32 v76, 6, v192
	ds_store_b64 v175, v[70:71] offset:21016
	ds_store_b64 v175, v[80:81] offset:24016
	;; [unrolled: 1-line block ×3, first 2 shown]
	ds_store_2addr_b64 v186, v[86:87], v[94:95] offset1:1
	global_wb scope:SCOPE_SE
	s_wait_dscnt 0x0
	s_barrier_signal -1
	v_and_b32_e32 v191, 0xff, v60
	s_barrier_wait -1
	global_inv scope:SCOPE_SE
	v_and_b32_e32 v186, 0xffff, v214
	v_mul_u32_u24_e32 v78, 0xaaab, v189
	v_lshlrev_b32_e32 v77, 6, v191
	s_clause 0x6
	global_load_b128 v[64:67], v76, s[4:5]
	global_load_b128 v[72:75], v77, s[4:5]
	global_load_b128 v[60:63], v76, s[4:5] offset:16
	global_load_b128 v[68:71], v77, s[4:5] offset:16
	;; [unrolled: 1-line block ×5, first 2 shown]
	v_mul_u32_u24_e32 v79, 0xaaab, v186
	v_lshrrev_b32_e32 v215, 17, v78
	v_and_b32_e32 v187, 0xffff, v211
	v_and_b32_e32 v222, 0xffff, v183
	;; [unrolled: 1-line block ×3, first 2 shown]
	v_lshrrev_b32_e32 v194, 17, v79
	v_mul_lo_u16 v92, v215, 3
	global_load_b128 v[76:79], v77, s[4:5] offset:48
	v_mul_u32_u24_e32 v232, 0x78, v222
	v_mul_u32_u24_e32 v233, 0x78, v193
	v_mul_lo_u16 v93, v194, 3
	v_sub_nc_u16 v92, v213, v92
	v_lshlrev_b32_e32 v234, 3, v192
	v_mul_u32_u24_e32 v194, 0x78, v194
	v_mul_u32_u24_e32 v215, 0x78, v215
	v_sub_nc_u16 v93, v214, v93
	v_and_b32_e32 v221, 0xffff, v92
	v_mul_u32_u24_e32 v92, 0xaaab, v188
	s_mov_b32 s13, 0xbfee6f0e
	s_mov_b32 s15, 0x3fee6f0e
	v_and_b32_e32 v220, 0xffff, v93
	v_mul_u32_u24_e32 v93, 0xaaab, v187
	v_lshrrev_b32_e32 v217, 17, v92
	v_lshlrev_b32_e32 v96, 6, v221
	s_mov_b32 s14, s12
	v_lshlrev_b32_e32 v104, 6, v220
	v_lshrrev_b32_e32 v216, 17, v93
	v_mul_lo_u16 v92, v217, 3
	s_clause 0x1
	global_load_b128 v[140:143], v96, s[4:5]
	global_load_b128 v[132:135], v104, s[4:5]
	s_mov_b32 s6, 0x4755a5e
	v_mul_lo_u16 v93, v216, 3
	v_sub_nc_u16 v97, v210, v92
	s_mov_b32 s7, 0xbfe2cf23
	s_mov_b32 s11, 0x3fe2cf23
	s_wait_alu 0xfffe
	s_mov_b32 s10, s6
	v_sub_nc_u16 v98, v211, v93
	s_clause 0x1
	global_load_b128 v[116:119], v96, s[4:5] offset:16
	global_load_b128 v[92:95], v104, s[4:5] offset:16
	v_and_b32_e32 v218, 0xffff, v97
	s_mov_b32 s2, 0x372fe950
	s_mov_b32 s3, 0x3fd3c6ef
	v_and_b32_e32 v219, 0xffff, v98
	s_clause 0x3
	global_load_b128 v[100:103], v96, s[4:5] offset:32
	global_load_b128 v[96:99], v96, s[4:5] offset:48
	;; [unrolled: 1-line block ×4, first 2 shown]
	v_lshlrev_b32_e32 v144, 6, v218
	v_cmp_gt_u32_e64 s0, 0x4b, v174
	s_mov_b32 s18, 0x9b97f4a8
	v_lshlrev_b32_e32 v152, 6, v219
	s_clause 0x7
	global_load_b128 v[112:115], v144, s[4:5]
	global_load_b128 v[120:123], v152, s[4:5]
	global_load_b128 v[124:127], v144, s[4:5] offset:16
	global_load_b128 v[128:131], v152, s[4:5] offset:16
	;; [unrolled: 1-line block ×6, first 2 shown]
	ds_load_2addr_b64 v[168:171], v200 offset0:110 offset1:235
	ds_load_2addr_b64 v[156:159], v201 offset0:92 offset1:217
	;; [unrolled: 1-line block ×4, first 2 shown]
	s_mov_b32 s19, 0x3fe9e377
	s_mov_b32 s17, 0xbfd3c6ef
	s_wait_alu 0xfffe
	s_mov_b32 s16, s2
	s_mov_b32 s1, 0xbfe9e377
	s_wait_loadcnt_dscnt 0x1703
	v_mul_f64_e32 v[179:180], v[168:169], v[66:67]
	v_mul_f64_e32 v[181:182], v[52:53], v[66:67]
	s_wait_loadcnt 0x16
	v_mul_f64_e32 v[177:178], v[170:171], v[74:75]
	v_mul_f64_e32 v[175:176], v[54:55], v[74:75]
	s_wait_loadcnt_dscnt 0x1502
	v_mul_f64_e32 v[66:67], v[156:157], v[62:63]
	v_mul_f64_e32 v[74:75], v[48:49], v[62:63]
	s_wait_loadcnt 0x14
	v_mul_f64_e32 v[62:63], v[158:159], v[70:71]
	v_mul_f64_e32 v[70:71], v[50:51], v[70:71]
	s_wait_loadcnt_dscnt 0x1201
	v_mul_f64_e32 v[183:184], v[164:165], v[90:91]
	v_mul_f64_e32 v[90:91], v[40:41], v[90:91]
	;; [unrolled: 1-line block ×4, first 2 shown]
	s_wait_loadcnt_dscnt 0x1100
	v_mul_f64_e32 v[228:229], v[160:161], v[82:83]
	v_mul_f64_e32 v[82:83], v[24:25], v[82:83]
	s_wait_loadcnt 0x10
	v_mul_f64_e32 v[230:231], v[162:163], v[78:79]
	v_mul_f64_e32 v[78:79], v[26:27], v[78:79]
	v_fma_f64 v[192:193], v[52:53], v[64:65], v[179:180]
	v_fma_f64 v[224:225], v[168:169], v[64:65], -v[181:182]
	ds_load_2addr_b64 v[179:182], v202 offset0:104 offset1:229
	v_fma_f64 v[226:227], v[54:55], v[72:73], v[177:178]
	v_fma_f64 v[72:73], v[170:171], v[72:73], -v[175:176]
	ds_load_2addr_b64 v[175:178], v204 offset0:68 offset1:193
	v_lshlrev_b32_e32 v52, 3, v191
	v_lshlrev_b32_e32 v64, 3, v220
	;; [unrolled: 1-line block ×3, first 2 shown]
	ds_load_2addr_b64 v[168:171], v203 offset0:86 offset1:211
	v_fma_f64 v[220:221], v[48:49], v[60:61], v[66:67]
	v_add3_u32 v54, 0, v233, v52
	v_add3_u32 v52, 0, v194, v64
	ds_load_2addr_b64 v[64:67], v205 offset0:50 offset1:175
	v_add3_u32 v55, 0, v232, v234
	v_fma_f64 v[74:75], v[156:157], v[60:61], -v[74:75]
	v_fma_f64 v[156:157], v[50:51], v[68:69], v[62:63]
	v_fma_f64 v[68:69], v[158:159], v[68:69], -v[70:71]
	v_fma_f64 v[158:159], v[40:41], v[88:89], v[183:184]
	;; [unrolled: 2-line block ×3, first 2 shown]
	v_fma_f64 v[84:85], v[166:167], v[84:85], -v[86:87]
	s_wait_loadcnt_dscnt 0xf03
	v_mul_f64_e32 v[232:233], v[179:180], v[142:143]
	v_mul_f64_e32 v[142:143], v[20:21], v[142:143]
	s_wait_loadcnt 0xe
	v_mul_f64_e32 v[70:71], v[181:182], v[134:135]
	v_mul_f64_e32 v[134:135], v[22:23], v[134:135]
	s_wait_loadcnt_dscnt 0xb02
	v_mul_f64_e32 v[86:87], v[175:176], v[102:103]
	s_wait_loadcnt 0x9
	v_mul_f64_e32 v[166:167], v[177:178], v[110:111]
	ds_load_2addr_b64 v[48:51], v206 offset0:98 offset1:223
	s_wait_dscnt 0x2
	v_mul_f64_e32 v[164:165], v[168:169], v[118:119]
	v_mul_f64_e32 v[183:184], v[170:171], v[94:95]
	ds_load_2addr_b64 v[60:63], v208 offset0:80 offset1:205
	v_fma_f64 v[228:229], v[24:25], v[80:81], v[228:229]
	s_wait_dscnt 0x2
	v_mul_f64_e32 v[222:223], v[64:65], v[98:99]
	s_wait_loadcnt 0x8
	v_mul_f64_e32 v[234:235], v[66:67], v[106:107]
	v_fma_f64 v[80:81], v[160:161], v[80:81], -v[82:83]
	ds_load_2addr_b64 v[40:43], v209 offset0:62 offset1:187
	v_fma_f64 v[82:83], v[26:27], v[76:77], v[230:231]
	ds_load_2addr_b64 v[24:27], v207 offset0:44 offset1:169
	v_fma_f64 v[76:77], v[162:163], v[76:77], -v[78:79]
	v_mul_f64_e32 v[106:107], v[38:39], v[106:107]
	v_mul_f64_e32 v[118:119], v[16:17], v[118:119]
	;; [unrolled: 1-line block ×4, first 2 shown]
	v_add3_u32 v53, 0, v215, v53
	s_wait_loadcnt_dscnt 0x703
	v_mul_f64_e32 v[160:161], v[48:49], v[114:115]
	s_wait_loadcnt 0x6
	v_mul_f64_e32 v[230:231], v[50:51], v[122:123]
	s_wait_loadcnt_dscnt 0x502
	v_mul_f64_e32 v[78:79], v[60:61], v[126:127]
	s_wait_loadcnt 0x4
	v_mul_f64_e32 v[162:163], v[62:63], v[130:131]
	v_fma_f64 v[232:233], v[20:21], v[140:141], v[232:233]
	v_fma_f64 v[140:141], v[179:180], v[140:141], -v[142:143]
	v_fma_f64 v[22:23], v[22:23], v[132:133], v[70:71]
	v_mul_f64_e32 v[70:71], v[44:45], v[102:103]
	v_mul_f64_e32 v[102:103], v[46:47], v[110:111]
	v_fma_f64 v[110:111], v[181:182], v[132:133], -v[134:135]
	s_wait_loadcnt_dscnt 0x301
	v_mul_f64_e32 v[20:21], v[40:41], v[138:139]
	s_wait_loadcnt_dscnt 0x200
	v_mul_f64_e32 v[132:133], v[24:25], v[146:147]
	s_wait_loadcnt 0x1
	v_mul_f64_e32 v[134:135], v[42:43], v[150:151]
	s_wait_loadcnt 0x0
	v_mul_f64_e32 v[142:143], v[26:27], v[154:155]
	v_fma_f64 v[44:45], v[44:45], v[100:101], v[86:87]
	v_mul_f64_e32 v[86:87], v[32:33], v[114:115]
	v_mul_f64_e32 v[114:115], v[34:35], v[122:123]
	;; [unrolled: 1-line block ×5, first 2 shown]
	v_fma_f64 v[164:165], v[16:17], v[116:117], v[164:165]
	v_fma_f64 v[179:180], v[18:19], v[92:93], v[183:184]
	;; [unrolled: 1-line block ×5, first 2 shown]
	v_mul_f64_e32 v[138:139], v[14:15], v[150:151]
	v_mul_f64_e32 v[146:147], v[56:57], v[146:147]
	;; [unrolled: 1-line block ×3, first 2 shown]
	v_fma_f64 v[66:67], v[66:67], v[104:105], -v[106:107]
	v_add_f64_e32 v[104:105], v[192:193], v[228:229]
	v_fma_f64 v[32:33], v[32:33], v[112:113], v[160:161]
	v_fma_f64 v[34:35], v[34:35], v[120:121], v[230:231]
	v_fma_f64 v[116:117], v[168:169], v[116:117], -v[118:119]
	v_fma_f64 v[78:79], v[28:29], v[124:125], v[78:79]
	v_fma_f64 v[150:151], v[30:31], v[128:129], v[162:163]
	v_fma_f64 v[92:93], v[170:171], v[92:93], -v[94:95]
	v_add_f64_e32 v[106:107], v[156:157], v[90:91]
	v_mul_u32_u24_e32 v16, 0x78, v217
	v_mul_u32_u24_e32 v18, 0x78, v216
	v_lshlrev_b32_e32 v17, 3, v218
	v_fma_f64 v[64:65], v[64:65], v[96:97], -v[98:99]
	v_add_f64_e64 v[162:163], v[156:157], -v[226:227]
	v_add_f64_e64 v[166:167], v[90:91], -v[82:83]
	v_lshlrev_b32_e32 v19, 3, v219
	v_add_f64_e64 v[96:97], v[192:193], -v[220:221]
	v_fma_f64 v[70:71], v[175:176], v[100:101], -v[70:71]
	v_add_f64_e32 v[100:101], v[0:1], v[192:193]
	v_fma_f64 v[94:95], v[177:178], v[108:109], -v[102:103]
	v_fma_f64 v[160:161], v[12:13], v[136:137], v[20:21]
	v_fma_f64 v[56:57], v[56:57], v[144:145], v[132:133]
	;; [unrolled: 1-line block ×4, first 2 shown]
	v_add_f64_e32 v[108:109], v[226:227], v[82:83]
	v_fma_f64 v[48:49], v[48:49], v[112:113], -v[86:87]
	v_add_f64_e32 v[86:87], v[220:221], v[158:159]
	v_fma_f64 v[50:51], v[50:51], v[120:121], -v[114:115]
	v_fma_f64 v[60:61], v[60:61], v[124:125], -v[122:123]
	;; [unrolled: 1-line block ×3, first 2 shown]
	v_add_f64_e32 v[130:131], v[2:3], v[226:227]
	v_add_f64_e32 v[114:115], v[164:165], v[44:45]
	;; [unrolled: 1-line block ×5, first 2 shown]
	v_fma_f64 v[62:63], v[62:63], v[128:129], -v[126:127]
	v_fma_f64 v[42:43], v[42:43], v[148:149], -v[138:139]
	v_fma_f64 v[24:25], v[24:25], v[144:145], -v[146:147]
	v_fma_f64 v[26:27], v[26:27], v[152:153], -v[154:155]
	v_add_f64_e64 v[102:103], v[224:225], -v[80:81]
	v_add_f64_e64 v[112:113], v[74:75], -v[88:89]
	v_add_f64_e32 v[136:137], v[4:5], v[232:233]
	v_add_f64_e32 v[138:139], v[6:7], v[22:23]
	v_add_f64_e64 v[146:147], v[220:221], -v[192:193]
	v_add_f64_e64 v[148:149], v[158:159], -v[228:229]
	;; [unrolled: 1-line block ×10, first 2 shown]
	v_add_f64_e32 v[144:145], v[10:11], v[34:35]
	v_add_f64_e64 v[175:176], v[164:165], -v[232:233]
	v_add_f64_e64 v[177:178], v[44:45], -v[36:37]
	v_add_f64_e32 v[100:101], v[100:101], v[220:221]
	v_add_f64_e32 v[142:143], v[8:9], v[32:33]
	;; [unrolled: 1-line block ×6, first 2 shown]
	v_add_f64_e64 v[230:231], v[56:57], -v[160:161]
	v_add_f64_e64 v[236:237], v[160:161], -v[56:57]
	v_fma_f64 v[86:87], v[86:87], -0.5, v[0:1]
	v_fma_f64 v[0:1], v[104:105], -0.5, v[0:1]
	v_add_f64_e64 v[168:169], v[232:233], -v[164:165]
	v_add_f64_e64 v[170:171], v[36:37], -v[44:45]
	v_add_f64_e32 v[130:131], v[130:131], v[156:157]
	v_fma_f64 v[104:105], v[106:107], -0.5, v[2:3]
	v_fma_f64 v[2:3], v[108:109], -0.5, v[2:3]
	v_add_f64_e64 v[108:109], v[150:151], -v[34:35]
	v_fma_f64 v[114:115], v[114:115], -0.5, v[4:5]
	v_fma_f64 v[4:5], v[118:119], -0.5, v[4:5]
	;; [unrolled: 1-line block ×4, first 2 shown]
	v_add_f64_e64 v[120:121], v[132:133], -v[58:59]
	v_add_f64_e64 v[122:123], v[68:69], -v[84:85]
	ds_load_2addr_b64 v[12:15], v195 offset1:125
	v_add_f64_e64 v[98:99], v[228:229], -v[158:159]
	v_add_f64_e64 v[238:239], v[34:35], -v[150:151]
	;; [unrolled: 1-line block ×3, first 2 shown]
	v_add_f64_e32 v[146:147], v[146:147], v[148:149]
	v_add_f64_e32 v[162:163], v[162:163], v[166:167]
	v_add_f64_e32 v[152:153], v[152:153], v[154:155]
	v_add_f64_e64 v[154:155], v[116:117], -v[70:71]
	v_add_f64_e32 v[138:139], v[138:139], v[179:180]
	v_add_f64_e64 v[166:167], v[140:141], -v[64:65]
	v_add_f64_e64 v[219:220], v[220:221], -v[158:159]
	;; [unrolled: 1-line block ×3, first 2 shown]
	v_add_f64_e32 v[181:182], v[181:182], v[183:184]
	v_add_f64_e64 v[183:184], v[60:61], -v[40:41]
	v_add_f64_e32 v[215:216], v[215:216], v[217:218]
	v_add_f64_e32 v[175:176], v[175:176], v[177:178]
	;; [unrolled: 1-line block ×3, first 2 shown]
	v_add_f64_e64 v[158:159], v[48:49], -v[24:25]
	v_fma_f64 v[124:125], v[124:125], -0.5, v[8:9]
	v_fma_f64 v[8:9], v[126:127], -0.5, v[8:9]
	v_fma_f64 v[126:127], v[128:129], -0.5, v[10:11]
	v_fma_f64 v[10:11], v[134:135], -0.5, v[10:11]
	v_add_f64_e32 v[134:135], v[136:137], v[164:165]
	v_add_f64_e64 v[136:137], v[72:73], -v[76:77]
	s_wait_dscnt 0x0
	v_add_f64_e32 v[148:149], v[12:13], v[224:225]
	v_fma_f64 v[217:218], v[112:113], s[14:15], v[0:1]
	v_fma_f64 v[0:1], v[112:113], s[12:13], v[0:1]
	v_add_f64_e32 v[221:222], v[222:223], v[230:231]
	v_add_f64_e32 v[230:231], v[234:235], v[236:237]
	v_fma_f64 v[234:235], v[102:103], s[12:13], v[86:87]
	v_fma_f64 v[86:87], v[102:103], s[14:15], v[86:87]
	v_add_f64_e64 v[236:237], v[62:63], -v[42:43]
	v_add_f64_e32 v[90:91], v[130:131], v[90:91]
	v_add_f64_e64 v[130:131], v[50:51], -v[26:27]
	v_add_f64_e64 v[177:178], v[110:111], -v[66:67]
	v_add_f64_e32 v[144:145], v[144:145], v[150:151]
	v_add_f64_e32 v[168:169], v[168:169], v[170:171]
	v_add_f64_e64 v[170:171], v[92:93], -v[94:95]
	v_add_f64_e32 v[142:143], v[142:143], v[78:79]
	v_add_f64_e32 v[108:109], v[108:109], v[120:121]
	v_fma_f64 v[120:121], v[122:123], s[14:15], v[2:3]
	v_fma_f64 v[2:3], v[122:123], s[12:13], v[2:3]
	v_add_f64_e32 v[128:129], v[74:75], v[88:89]
	v_add_f64_e32 v[96:97], v[96:97], v[98:99]
	v_add_f64_e32 v[98:99], v[224:225], v[80:81]
	v_add_f64_e64 v[164:165], v[164:165], -v[44:45]
	v_add_f64_e32 v[106:107], v[238:239], v[106:107]
	v_add_f64_e64 v[238:239], v[224:225], -v[74:75]
	v_add_f64_e64 v[223:224], v[74:75], -v[224:225]
	;; [unrolled: 1-line block ×3, first 2 shown]
	v_add_f64_e32 v[46:47], v[138:139], v[46:47]
	v_fma_f64 v[138:139], v[166:167], s[12:13], v[114:115]
	v_fma_f64 v[114:115], v[166:167], s[14:15], v[114:115]
	v_add_f64_e64 v[191:192], v[192:193], -v[228:229]
	v_add_f64_e64 v[193:194], v[226:227], -v[82:83]
	v_add_f64_e32 v[100:101], v[100:101], v[228:229]
	v_add_f64_e64 v[150:151], v[150:151], -v[132:133]
	v_fma_f64 v[225:226], v[183:184], s[14:15], v[8:9]
	v_fma_f64 v[8:9], v[183:184], s[12:13], v[8:9]
	v_add_f64_e64 v[78:79], v[78:79], -v[160:161]
	v_add_f64_e32 v[44:45], v[134:135], v[44:45]
	v_fma_f64 v[134:135], v[136:137], s[12:13], v[104:105]
	v_fma_f64 v[104:105], v[136:137], s[14:15], v[104:105]
	v_add_f64_e32 v[74:75], v[148:149], v[74:75]
	v_fma_f64 v[148:149], v[154:155], s[14:15], v[4:5]
	v_fma_f64 v[4:5], v[154:155], s[12:13], v[4:5]
	v_fma_f64 v[217:218], v[102:103], s[6:7], v[217:218]
	v_fma_f64 v[0:1], v[102:103], s[10:11], v[0:1]
	v_fma_f64 v[102:103], v[158:159], s[12:13], v[124:125]
	v_fma_f64 v[124:125], v[158:159], s[14:15], v[124:125]
	v_fma_f64 v[227:228], v[112:113], s[6:7], v[234:235]
	v_fma_f64 v[86:87], v[112:113], s[10:11], v[86:87]
	v_fma_f64 v[112:113], v[236:237], s[14:15], v[10:11]
	v_fma_f64 v[10:11], v[236:237], s[12:13], v[10:11]
	v_add_f64_e32 v[82:83], v[90:91], v[82:83]
	v_fma_f64 v[90:91], v[130:131], s[12:13], v[126:127]
	v_fma_f64 v[126:127], v[130:131], s[14:15], v[126:127]
	v_add_f64_e32 v[132:133], v[144:145], v[132:133]
	v_fma_f64 v[144:145], v[177:178], s[12:13], v[118:119]
	v_add_f64_e32 v[142:143], v[142:143], v[160:161]
	v_fma_f64 v[160:161], v[170:171], s[14:15], v[6:7]
	v_fma_f64 v[6:7], v[170:171], s[12:13], v[6:7]
	;; [unrolled: 1-line block ×5, first 2 shown]
	v_add_f64_e32 v[136:137], v[68:69], v[84:85]
	v_add_f64_e64 v[232:233], v[232:233], -v[36:37]
	v_add_f64_e64 v[22:23], v[22:23], -v[38:39]
	v_add_f64_e32 v[38:39], v[46:47], v[38:39]
	v_fma_f64 v[138:139], v[154:155], s[6:7], v[138:139]
	v_fma_f64 v[114:115], v[154:155], s[10:11], v[114:115]
	v_add_f64_e32 v[154:155], v[92:93], v[94:95]
	v_add_f64_e32 v[46:47], v[110:111], v[66:67]
	v_add_f64_e32 v[234:235], v[50:51], v[26:27]
	v_fma_f64 v[128:129], v[128:129], -0.5, v[12:13]
	v_fma_f64 v[225:226], v[158:159], s[6:7], v[225:226]
	v_fma_f64 v[8:9], v[158:159], s[10:11], v[8:9]
	v_add_f64_e32 v[158:159], v[60:61], v[40:41]
	v_add_f64_e32 v[36:37], v[44:45], v[36:37]
	v_fma_f64 v[134:135], v[122:123], s[6:7], v[134:135]
	v_fma_f64 v[104:105], v[122:123], s[10:11], v[104:105]
	v_add_f64_e32 v[122:123], v[72:73], v[76:77]
	v_add_f64_e32 v[44:45], v[116:117], v[70:71]
	v_fma_f64 v[148:149], v[166:167], s[6:7], v[148:149]
	v_fma_f64 v[4:5], v[166:167], s[10:11], v[4:5]
	v_add_f64_e32 v[166:167], v[140:141], v[64:65]
	v_fma_f64 v[102:103], v[183:184], s[6:7], v[102:103]
	v_fma_f64 v[124:125], v[183:184], s[10:11], v[124:125]
	;; [unrolled: 3-line block ×3, first 2 shown]
	v_fma_f64 v[10:11], v[130:131], s[10:11], v[10:11]
	v_add_f64_e32 v[130:131], v[62:63], v[42:43]
	v_fma_f64 v[90:91], v[236:237], s[6:7], v[90:91]
	v_fma_f64 v[126:127], v[236:237], s[10:11], v[126:127]
	;; [unrolled: 1-line block ×4, first 2 shown]
	v_add_f64_e64 v[96:97], v[80:81], -v[88:89]
	v_fma_f64 v[160:161], v[177:178], s[6:7], v[160:161]
	v_fma_f64 v[6:7], v[177:178], s[10:11], v[6:7]
	v_fma_f64 v[12:13], v[98:99], -0.5, v[12:13]
	v_fma_f64 v[118:119], v[170:171], s[10:11], v[118:119]
	v_add_f64_e32 v[177:178], v[14:15], v[72:73]
	v_fma_f64 v[136:137], v[136:137], -0.5, v[14:15]
	v_add3_u32 v17, 0, v16, v17
	v_add3_u32 v16, 0, v18, v19
	ds_load_2addr_b64 v[18:21], v196 offset0:122 offset1:247
	ds_load_2addr_b64 v[28:31], v197 offset0:116 offset1:241
	v_add_f64_e64 v[32:33], v[32:33], -v[56:57]
	v_add_f64_e32 v[56:57], v[142:143], v[56:57]
	v_add_f64_e64 v[34:35], v[34:35], -v[58:59]
	v_add_f64_e32 v[58:59], v[132:133], v[58:59]
	v_fma_f64 v[217:218], v[146:147], s[2:3], v[217:218]
	v_fma_f64 v[0:1], v[146:147], s[2:3], v[0:1]
	;; [unrolled: 1-line block ×7, first 2 shown]
	v_fma_f64 v[14:15], v[122:123], -0.5, v[14:15]
	v_fma_f64 v[114:115], v[168:169], s[2:3], v[114:115]
	v_fma_f64 v[148:149], v[175:176], s[2:3], v[148:149]
	;; [unrolled: 1-line block ×3, first 2 shown]
	v_add_f64_e32 v[74:75], v[74:75], v[88:89]
	v_fma_f64 v[152:153], v[191:192], s[14:15], v[128:129]
	v_add_f64_e64 v[88:89], v[88:89], -v[80:81]
	s_wait_dscnt 0x1
	v_add_f64_e32 v[170:171], v[18:19], v[140:141]
	v_add_f64_e32 v[142:143], v[20:21], v[110:111]
	s_wait_dscnt 0x0
	v_add_f64_e32 v[132:133], v[28:29], v[48:49]
	v_add_f64_e32 v[146:147], v[30:31], v[50:51]
	v_fma_f64 v[44:45], v[44:45], -0.5, v[18:19]
	v_fma_f64 v[90:91], v[106:107], s[2:3], v[90:91]
	v_fma_f64 v[106:107], v[106:107], s[2:3], v[126:127]
	v_fma_f64 v[18:19], v[166:167], -0.5, v[18:19]
	v_fma_f64 v[122:123], v[154:155], -0.5, v[20:21]
	;; [unrolled: 1-line block ×7, first 2 shown]
	v_fma_f64 v[144:145], v[181:182], s[2:3], v[144:145]
	v_fma_f64 v[160:161], v[215:216], s[2:3], v[160:161]
	;; [unrolled: 1-line block ×3, first 2 shown]
	v_add_f64_e32 v[154:155], v[238:239], v[96:97]
	v_fma_f64 v[96:97], v[219:220], s[12:13], v[12:13]
	v_fma_f64 v[12:13], v[219:220], s[14:15], v[12:13]
	;; [unrolled: 1-line block ×4, first 2 shown]
	v_add_f64_e64 v[120:121], v[72:73], -v[68:69]
	v_add_f64_e64 v[162:163], v[76:77], -v[84:85]
	;; [unrolled: 1-line block ×3, first 2 shown]
	v_fma_f64 v[102:103], v[221:222], s[2:3], v[102:103]
	v_add_f64_e32 v[68:69], v[177:178], v[68:69]
	v_fma_f64 v[130:131], v[193:194], s[14:15], v[136:137]
	v_fma_f64 v[168:169], v[230:231], s[2:3], v[225:226]
	;; [unrolled: 1-line block ×6, first 2 shown]
	global_wb scope:SCOPE_SE
	s_barrier_signal -1
	s_barrier_wait -1
	global_inv scope:SCOPE_SE
	v_add_f64_e64 v[108:109], v[84:85], -v[76:77]
	v_fma_f64 v[136:137], v[193:194], s[12:13], v[136:137]
	ds_store_2addr_b64 v55, v[100:101], v[227:228] offset1:3
	ds_store_2addr_b64 v55, v[217:218], v[0:1] offset0:6 offset1:9
	ds_store_b64 v55, v[86:87] offset:96
	ds_store_2addr_b64 v54, v[82:83], v[134:135] offset1:3
	ds_store_2addr_b64 v54, v[98:99], v[2:3] offset0:6 offset1:9
	ds_store_b64 v54, v[104:105] offset:96
	;; [unrolled: 3-line block ×6, first 2 shown]
	v_fma_f64 v[0:1], v[156:157], s[12:13], v[14:15]
	v_fma_f64 v[2:3], v[156:157], s[14:15], v[14:15]
	v_add_f64_e64 v[4:5], v[140:141], -v[116:117]
	v_add_f64_e64 v[6:7], v[64:65], -v[70:71]
	v_add_f64_e32 v[8:9], v[170:171], v[116:117]
	v_add_f64_e64 v[10:11], v[116:117], -v[140:141]
	v_fma_f64 v[14:15], v[232:233], s[14:15], v[44:45]
	v_fma_f64 v[36:37], v[232:233], s[12:13], v[44:45]
	;; [unrolled: 1-line block ×3, first 2 shown]
	v_add_f64_e64 v[44:45], v[70:71], -v[64:65]
	v_add_f64_e64 v[56:57], v[110:111], -v[92:93]
	v_add_f64_e64 v[58:59], v[66:67], -v[94:95]
	v_add_f64_e32 v[82:83], v[142:143], v[92:93]
	v_add_f64_e64 v[86:87], v[92:93], -v[110:111]
	v_fma_f64 v[90:91], v[22:23], s[14:15], v[122:123]
	v_fma_f64 v[92:93], v[22:23], s[12:13], v[122:123]
	;; [unrolled: 1-line block ×4, first 2 shown]
	v_add_f64_e64 v[100:101], v[94:95], -v[66:67]
	v_add_f64_e64 v[102:103], v[48:49], -v[60:61]
	;; [unrolled: 1-line block ×3, first 2 shown]
	v_add_f64_e32 v[106:107], v[132:133], v[60:61]
	v_add_f64_e64 v[48:49], v[60:61], -v[48:49]
	v_fma_f64 v[60:61], v[32:33], s[14:15], v[46:47]
	v_fma_f64 v[46:47], v[32:33], s[12:13], v[46:47]
	;; [unrolled: 1-line block ×4, first 2 shown]
	v_add_f64_e64 v[112:113], v[40:41], -v[24:25]
	v_add_f64_e64 v[114:115], v[50:51], -v[62:63]
	;; [unrolled: 1-line block ×4, first 2 shown]
	v_fma_f64 v[124:125], v[150:151], s[12:13], v[30:31]
	v_fma_f64 v[30:31], v[150:151], s[14:15], v[30:31]
	v_fma_f64 v[18:19], v[164:165], s[14:15], v[18:19]
	v_add_f64_e64 v[116:117], v[26:27], -v[42:43]
	v_add_f64_e32 v[118:119], v[146:147], v[62:63]
	v_fma_f64 v[62:63], v[34:35], s[14:15], v[126:127]
	v_fma_f64 v[126:127], v[34:35], s[12:13], v[126:127]
	v_add_f64_e32 v[74:75], v[74:75], v[80:81]
	v_fma_f64 v[80:81], v[219:220], s[10:11], v[152:153]
	v_add_f64_e32 v[88:89], v[223:224], v[88:89]
	v_fma_f64 v[134:135], v[191:192], s[10:11], v[96:97]
	v_fma_f64 v[12:13], v[191:192], s[6:7], v[12:13]
	;; [unrolled: 1-line block ×3, first 2 shown]
	v_add_f64_e32 v[138:139], v[120:121], v[162:163]
	v_add_f64_e32 v[68:69], v[68:69], v[84:85]
	v_fma_f64 v[84:85], v[156:157], s[10:11], v[130:131]
	v_fma_f64 v[136:137], v[156:157], s[6:7], v[136:137]
	v_add_f64_e32 v[72:73], v[72:73], v[108:109]
	v_fma_f64 v[108:109], v[193:194], s[10:11], v[0:1]
	v_fma_f64 v[140:141], v[193:194], s[6:7], v[2:3]
	;; [unrolled: 3-line block ×3, first 2 shown]
	v_add_f64_e32 v[8:9], v[8:9], v[70:71]
	v_add_f64_e32 v[10:11], v[10:11], v[44:45]
	v_fma_f64 v[36:37], v[232:233], s[10:11], v[38:39]
	v_add_f64_e32 v[38:39], v[56:57], v[58:59]
	v_fma_f64 v[44:45], v[179:180], s[10:11], v[90:91]
	v_add_f64_e32 v[58:59], v[82:83], v[94:95]
	v_add_f64_e32 v[70:71], v[86:87], v[100:101]
	v_fma_f64 v[82:83], v[22:23], s[10:11], v[98:99]
	v_fma_f64 v[20:21], v[22:23], s[6:7], v[20:21]
	v_add_f64_e32 v[22:23], v[102:103], v[104:105]
	v_fma_f64 v[60:61], v[78:79], s[10:11], v[60:61]
	v_fma_f64 v[46:47], v[78:79], s[6:7], v[46:47]
	v_add_f64_e32 v[40:41], v[106:107], v[40:41]
	v_add_f64_e32 v[48:49], v[48:49], v[112:113]
	v_fma_f64 v[78:79], v[32:33], s[10:11], v[110:111]
	v_fma_f64 v[28:29], v[32:33], s[6:7], v[28:29]
	v_add_f64_e32 v[50:51], v[50:51], v[122:123]
	v_fma_f64 v[86:87], v[34:35], s[10:11], v[124:125]
	v_fma_f64 v[30:31], v[34:35], s[6:7], v[30:31]
	;; [unrolled: 1-line block ×4, first 2 shown]
	v_add_f64_e32 v[32:33], v[114:115], v[116:117]
	v_add_f64_e32 v[42:43], v[118:119], v[42:43]
	v_fma_f64 v[62:63], v[150:151], s[10:11], v[62:63]
	v_fma_f64 v[34:35], v[150:151], s[6:7], v[126:127]
	;; [unrolled: 1-line block ×6, first 2 shown]
	v_add_f64_e32 v[68:69], v[68:69], v[76:77]
	v_fma_f64 v[126:127], v[138:139], s[2:3], v[84:85]
	v_fma_f64 v[128:129], v[138:139], s[2:3], v[136:137]
	global_wb scope:SCOPE_SE
	s_wait_dscnt 0x0
	v_fma_f64 v[134:135], v[72:73], s[2:3], v[108:109]
	v_fma_f64 v[72:73], v[72:73], s[2:3], v[140:141]
	s_barrier_signal -1
	v_fma_f64 v[136:137], v[4:5], s[2:3], v[6:7]
	v_fma_f64 v[14:15], v[4:5], s[2:3], v[14:15]
	v_add_f64_e32 v[64:65], v[8:9], v[64:65]
	s_barrier_wait -1
	v_fma_f64 v[36:37], v[10:11], s[2:3], v[36:37]
	global_inv scope:SCOPE_SE
	v_fma_f64 v[44:45], v[38:39], s[2:3], v[44:45]
	v_add_f64_e32 v[58:59], v[58:59], v[66:67]
	ds_load_2addr_b64 v[0:3], v195 offset1:125
	ds_load_2addr_b64 v[118:121], v200 offset0:110 offset1:235
	ds_load_2addr_b64 v[130:133], v201 offset0:92 offset1:217
	;; [unrolled: 1-line block ×4, first 2 shown]
	v_fma_f64 v[20:21], v[70:71], s[2:3], v[20:21]
	v_add_f64_e32 v[24:25], v[40:41], v[24:25]
	v_fma_f64 v[40:41], v[22:23], s[2:3], v[60:61]
	v_fma_f64 v[22:23], v[22:23], s[2:3], v[46:47]
	;; [unrolled: 1-line block ×9, first 2 shown]
	v_add_f64_e32 v[26:27], v[42:43], v[26:27]
	v_fma_f64 v[42:43], v[32:33], s[2:3], v[62:63]
	v_fma_f64 v[32:33], v[32:33], s[2:3], v[34:35]
	v_mul_lo_u16 v34, 0x89, v185
	ds_load_2addr_b64 v[8:11], v196 offset0:122 offset1:247
	ds_load_2addr_b64 v[108:111], v202 offset0:104 offset1:229
	;; [unrolled: 1-line block ×10, first 2 shown]
	global_wb scope:SCOPE_SE
	s_wait_dscnt 0x0
	s_barrier_signal -1
	s_barrier_wait -1
	global_inv scope:SCOPE_SE
	ds_store_2addr_b64 v55, v[74:75], v[116:117] offset1:3
	ds_store_2addr_b64 v55, v[122:123], v[12:13] offset0:6 offset1:9
	ds_store_b64 v55, v[124:125] offset:96
	ds_store_2addr_b64 v54, v[68:69], v[126:127] offset1:3
	v_lshrrev_b16 v221, 11, v34
	v_mul_lo_u16 v12, 0x89, v190
	ds_store_2addr_b64 v54, v[134:135], v[72:73] offset0:6 offset1:9
	ds_store_b64 v54, v[128:129] offset:96
	ds_store_2addr_b64 v53, v[64:65], v[136:137] offset1:3
	ds_store_2addr_b64 v53, v[36:37], v[18:19] offset0:6 offset1:9
	v_mul_lo_u16 v13, v221, 15
	v_lshrrev_b16 v191, 11, v12
	ds_store_b64 v53, v[14:15] offset:96
	ds_store_2addr_b64 v52, v[58:59], v[44:45] offset1:3
	ds_store_2addr_b64 v52, v[56:57], v[20:21] offset0:6 offset1:9
	ds_store_b64 v52, v[38:39] offset:96
	ds_store_2addr_b64 v17, v[24:25], v[40:41] offset1:3
	ds_store_2addr_b64 v17, v[46:47], v[28:29] offset0:6 offset1:9
	ds_store_b64 v17, v[22:23] offset:96
	ds_store_2addr_b64 v16, v[26:27], v[42:43] offset1:3
	v_sub_nc_u16 v12, v174, v13
	v_mul_lo_u16 v13, v191, 15
	ds_store_2addr_b64 v16, v[48:49], v[30:31] offset0:6 offset1:9
	ds_store_b64 v16, v[32:33] offset:96
	global_wb scope:SCOPE_SE
	s_wait_dscnt 0x0
	s_barrier_signal -1
	v_and_b32_e32 v222, 0xff, v12
	v_sub_nc_u16 v13, v212, v13
	s_barrier_wait -1
	global_inv scope:SCOPE_SE
	v_mul_u32_u24_e32 v15, 0x8889, v186
	v_lshlrev_b32_e32 v12, 6, v222
	v_and_b32_e32 v192, 0xff, v13
	v_mul_u32_u24_e32 v14, 0x8889, v189
	s_delay_alu instid0(VALU_DEP_4) | instskip(SKIP_1) | instid1(VALU_DEP_4)
	v_lshrrev_b32_e32 v193, 19, v15
	v_mul_u32_u24_e32 v15, 0x8889, v187
	v_lshlrev_b32_e32 v13, 6, v192
	s_clause 0x7
	global_load_b128 v[122:125], v12, s[4:5] offset:192
	global_load_b128 v[126:129], v13, s[4:5] offset:192
	;; [unrolled: 1-line block ×8, first 2 shown]
	v_lshrrev_b32_e32 v194, 19, v14
	v_mul_lo_u16 v14, v193, 15
	v_lshrrev_b32_e32 v215, 19, v15
	s_delay_alu instid0(VALU_DEP_3) | instskip(NEXT) | instid1(VALU_DEP_3)
	v_mul_lo_u16 v12, v194, 15
	v_sub_nc_u16 v13, v214, v14
	v_mul_u32_u24_e32 v14, 0x8889, v188
	s_delay_alu instid0(VALU_DEP_4) | instskip(NEXT) | instid1(VALU_DEP_4)
	v_mul_lo_u16 v17, v215, 15
	v_sub_nc_u16 v12, v213, v12
	s_delay_alu instid0(VALU_DEP_4) | instskip(NEXT) | instid1(VALU_DEP_4)
	v_and_b32_e32 v218, 0xffff, v13
	v_lshrrev_b32_e32 v219, 19, v14
	s_delay_alu instid0(VALU_DEP_4) | instskip(NEXT) | instid1(VALU_DEP_4)
	v_sub_nc_u16 v30, v211, v17
	v_and_b32_e32 v220, 0xffff, v12
	s_delay_alu instid0(VALU_DEP_4) | instskip(NEXT) | instid1(VALU_DEP_4)
	v_lshlrev_b32_e32 v40, 6, v218
	v_mul_lo_u16 v16, v219, 15
	s_delay_alu instid0(VALU_DEP_4) | instskip(NEXT) | instid1(VALU_DEP_4)
	v_and_b32_e32 v216, 0xffff, v30
	v_lshlrev_b32_e32 v28, 6, v220
	s_clause 0x1
	global_load_b128 v[20:23], v28, s[4:5] offset:192
	global_load_b128 v[12:15], v40, s[4:5] offset:192
	v_sub_nc_u16 v29, v210, v16
	v_lshlrev_b32_e32 v72, 6, v216
	s_clause 0x1
	global_load_b128 v[16:19], v28, s[4:5] offset:208
	global_load_b128 v[24:27], v40, s[4:5] offset:208
	v_and_b32_e32 v217, 0xffff, v29
	s_clause 0x2
	global_load_b128 v[32:35], v28, s[4:5] offset:224
	global_load_b128 v[36:39], v40, s[4:5] offset:224
	;; [unrolled: 1-line block ×3, first 2 shown]
	v_lshlrev_b32_e32 v68, 6, v217
	s_clause 0x8
	global_load_b128 v[40:43], v40, s[4:5] offset:240
	global_load_b128 v[44:47], v68, s[4:5] offset:192
	;; [unrolled: 1-line block ×9, first 2 shown]
	ds_load_2addr_b64 v[158:161], v200 offset0:110 offset1:235
	ds_load_2addr_b64 v[175:178], v201 offset0:92 offset1:217
	;; [unrolled: 1-line block ×4, first 2 shown]
	s_wait_loadcnt_dscnt 0x1703
	v_mul_f64_e32 v[116:117], v[158:159], v[124:125]
	s_wait_loadcnt 0x16
	v_mul_f64_e32 v[134:135], v[160:161], v[128:129]
	v_mul_f64_e32 v[128:129], v[120:121], v[128:129]
	s_wait_loadcnt_dscnt 0x1502
	v_mul_f64_e32 v[156:157], v[175:176], v[154:155]
	v_mul_f64_e32 v[170:171], v[130:131], v[154:155]
	s_wait_loadcnt 0x14
	v_mul_f64_e32 v[187:188], v[177:178], v[168:169]
	v_mul_f64_e32 v[168:169], v[132:133], v[168:169]
	s_wait_loadcnt_dscnt 0x1301
	v_mul_f64_e32 v[223:224], v[179:180], v[142:143]
	v_mul_f64_e32 v[225:226], v[96:97], v[142:143]
	s_wait_loadcnt_dscnt 0x1100
	v_mul_f64_e32 v[231:232], v[183:184], v[150:151]
	s_wait_loadcnt 0x10
	v_mul_f64_e32 v[237:238], v[114:115], v[146:147]
	v_mul_f64_e32 v[124:125], v[118:119], v[124:125]
	;; [unrolled: 1-line block ×6, first 2 shown]
	v_fma_f64 v[162:163], v[118:119], v[122:123], v[116:117]
	ds_load_2addr_b64 v[116:119], v202 offset0:104 offset1:229
	v_fma_f64 v[142:143], v[160:161], v[126:127], -v[128:129]
	v_fma_f64 v[164:165], v[130:131], v[152:153], v[156:157]
	v_fma_f64 v[156:157], v[175:176], v[152:153], -v[170:171]
	v_fma_f64 v[160:161], v[132:133], v[166:167], v[187:188]
	v_fma_f64 v[146:147], v[177:178], v[166:167], -v[168:169]
	v_fma_f64 v[170:171], v[96:97], v[140:141], v[223:224]
	v_fma_f64 v[166:167], v[179:180], v[140:141], -v[225:226]
	ds_load_2addr_b64 v[138:141], v209 offset0:62 offset1:187
	v_fma_f64 v[168:169], v[112:113], v[148:149], v[231:232]
	v_fma_f64 v[112:113], v[185:186], v[144:145], -v[237:238]
	v_fma_f64 v[154:155], v[158:159], v[122:123], -v[124:125]
	v_fma_f64 v[158:159], v[120:121], v[126:127], v[134:135]
	ds_load_2addr_b64 v[124:127], v204 offset0:68 offset1:193
	ds_load_2addr_b64 v[120:123], v203 offset0:86 offset1:211
	v_fma_f64 v[175:176], v[98:99], v[136:137], v[227:228]
	v_fma_f64 v[96:97], v[181:182], v[136:137], -v[229:230]
	v_fma_f64 v[98:99], v[183:184], v[148:149], -v[233:234]
	s_wait_loadcnt 0xf
	v_mul_f64_e32 v[148:149], v[108:109], v[22:23]
	s_wait_loadcnt 0xa
	v_mul_f64_e32 v[183:184], v[102:103], v[38:39]
	s_wait_dscnt 0x3
	v_mul_f64_e32 v[177:178], v[116:117], v[22:23]
	v_mul_f64_e32 v[187:188], v[118:119], v[14:15]
	;; [unrolled: 1-line block ×3, first 2 shown]
	ds_load_2addr_b64 v[128:131], v205 offset0:50 offset1:175
	ds_load_2addr_b64 v[132:135], v206 offset0:98 offset1:223
	;; [unrolled: 1-line block ×3, first 2 shown]
	v_fma_f64 v[136:137], v[114:115], v[144:145], v[235:236]
	v_mul_f64_e32 v[144:145], v[110:111], v[14:15]
	s_wait_loadcnt_dscnt 0x305
	v_mul_f64_e32 v[237:238], v[138:139], v[62:63]
	s_wait_loadcnt 0x2
	v_mul_f64_e32 v[245:246], v[140:141], v[66:67]
	v_mul_f64_e32 v[62:63], v[80:81], v[62:63]
	;; [unrolled: 1-line block ×4, first 2 shown]
	s_wait_dscnt 0x4
	v_mul_f64_e32 v[229:230], v[126:127], v[38:39]
	s_wait_dscnt 0x3
	v_mul_f64_e32 v[225:226], v[122:123], v[26:27]
	v_mul_f64_e32 v[223:224], v[120:121], v[18:19]
	;; [unrolled: 1-line block ×4, first 2 shown]
	s_wait_dscnt 0x2
	v_mul_f64_e32 v[239:240], v[128:129], v[30:31]
	v_mul_f64_e32 v[241:242], v[130:131], v[42:43]
	s_wait_dscnt 0x1
	v_mul_f64_e32 v[231:232], v[132:133], v[46:47]
	v_mul_f64_e32 v[233:234], v[134:135], v[50:51]
	;; [unrolled: 3-line block ×3, first 2 shown]
	v_mul_f64_e32 v[46:47], v[88:89], v[46:47]
	v_mul_f64_e32 v[50:51], v[90:91], v[50:51]
	;; [unrolled: 1-line block ×4, first 2 shown]
	v_fma_f64 v[114:115], v[108:109], v[20:21], v[177:178]
	v_fma_f64 v[108:109], v[110:111], v[12:13], v[187:188]
	v_mul_f64_e32 v[187:188], v[94:95], v[42:43]
	v_mul_f64_e32 v[177:178], v[104:105], v[18:19]
	v_fma_f64 v[20:21], v[116:117], v[20:21], -v[148:149]
	v_fma_f64 v[12:13], v[118:119], v[12:13], -v[144:145]
	v_fma_f64 v[38:39], v[80:81], v[60:61], v[237:238]
	v_fma_f64 v[22:23], v[82:83], v[64:65], v[245:246]
	ds_load_2addr_b64 v[80:83], v207 offset0:44 offset1:169
	ds_load_2addr_b64 v[116:119], v196 offset0:122 offset1:247
	v_fma_f64 v[102:103], v[102:103], v[36:37], v[229:230]
	v_fma_f64 v[106:107], v[106:107], v[24:25], v[225:226]
	v_fma_f64 v[110:111], v[104:105], v[16:17], v[223:224]
	v_fma_f64 v[104:105], v[100:101], v[32:33], v[227:228]
	v_fma_f64 v[32:33], v[124:125], v[32:33], -v[181:182]
	v_fma_f64 v[36:37], v[126:127], v[36:37], -v[183:184]
	v_fma_f64 v[24:25], v[122:123], v[24:25], -v[179:180]
	v_add_f64_e64 v[183:184], v[160:161], -v[158:159]
	v_add_f64_e64 v[179:180], v[164:165], -v[170:171]
	v_fma_f64 v[100:101], v[92:93], v[28:29], v[239:240]
	v_fma_f64 v[92:93], v[94:95], v[40:41], v[241:242]
	;; [unrolled: 1-line block ×6, first 2 shown]
	v_fma_f64 v[44:45], v[132:133], v[44:45], -v[46:47]
	s_wait_loadcnt_dscnt 0x101
	v_mul_f64_e32 v[26:27], v[80:81], v[70:71]
	v_mul_f64_e32 v[70:71], v[76:77], v[70:71]
	v_fma_f64 v[46:47], v[134:135], v[48:49], -v[50:51]
	v_fma_f64 v[48:49], v[150:151], v[52:53], -v[54:55]
	;; [unrolled: 1-line block ×4, first 2 shown]
	v_add_f64_e32 v[66:67], v[0:1], v[162:163]
	v_lshlrev_b32_e32 v84, 3, v218
	v_fma_f64 v[52:53], v[138:139], v[60:61], -v[62:63]
	v_add_f64_e32 v[60:61], v[164:165], v[170:171]
	v_add_f64_e32 v[94:95], v[2:3], v[158:159]
	v_mul_u32_u24_e32 v86, 0x258, v215
	v_lshlrev_b32_e32 v85, 3, v217
	v_lshlrev_b32_e32 v87, 3, v216
	v_fma_f64 v[28:29], v[128:129], v[28:29], -v[185:186]
	v_fma_f64 v[40:41], v[130:131], v[40:41], -v[187:188]
	;; [unrolled: 1-line block ×3, first 2 shown]
	v_add_f64_e64 v[62:63], v[162:163], -v[164:165]
	v_add_f64_e64 v[64:65], v[168:169], -v[170:171]
	v_add_f64_e32 v[140:141], v[8:9], v[114:115]
	v_add_f64_e64 v[134:135], v[164:165], -v[162:163]
	v_add_f64_e64 v[138:139], v[170:171], -v[168:169]
	;; [unrolled: 1-line block ×3, first 2 shown]
	v_add_f64_e32 v[120:121], v[106:107], v[102:103]
	v_add_f64_e64 v[152:153], v[158:159], -v[160:161]
	v_add_f64_e64 v[177:178], v[136:137], -v[175:176]
	v_add_f64_e32 v[144:145], v[10:11], v[108:109]
	v_add_f64_e64 v[187:188], v[114:115], -v[110:111]
	v_add_f64_e64 v[185:186], v[175:176], -v[136:137]
	v_add_f64_e32 v[132:133], v[156:157], v[166:167]
	v_add_f64_e64 v[215:216], v[104:105], -v[100:101]
	v_add_f64_e32 v[90:91], v[114:115], v[100:101]
	v_add_f64_e32 v[122:123], v[108:109], v[92:93]
	;; [unrolled: 1-line block ×6, first 2 shown]
	v_fma_f64 v[42:43], v[76:77], v[68:69], v[26:27]
	s_wait_loadcnt 0x0
	v_mul_f64_e32 v[26:27], v[82:83], v[74:75]
	v_mul_f64_e32 v[74:75], v[78:79], v[74:75]
	v_and_b32_e32 v76, 0xffff, v221
	v_lshlrev_b32_e32 v77, 3, v222
	v_fma_f64 v[56:57], v[80:81], v[68:69], -v[70:71]
	v_add_f64_e64 v[70:71], v[156:157], -v[166:167]
	v_add_f64_e32 v[66:67], v[66:67], v[164:165]
	v_mul_u32_u24_e32 v76, 0x258, v76
	v_add_f64_e32 v[80:81], v[158:159], v[136:137]
	v_add_f64_e64 v[68:69], v[154:155], -v[98:99]
	v_add_f64_e32 v[94:95], v[94:95], v[160:161]
	v_add_f64_e64 v[221:222], v[106:107], -v[108:109]
	v_add3_u32 v76, 0, v76, v77
	v_and_b32_e32 v77, 0xffff, v191
	v_add_f64_e64 v[223:224], v[102:103], -v[92:93]
	v_add_f64_e64 v[225:226], v[30:31], -v[34:35]
	;; [unrolled: 1-line block ×3, first 2 shown]
	v_add_f64_e32 v[62:63], v[62:63], v[64:65]
	v_mul_u32_u24_e32 v77, 0x258, v77
	v_add_f64_e64 v[64:65], v[20:21], -v[28:29]
	v_add_f64_e32 v[140:141], v[140:141], v[110:111]
	v_add_f64_e64 v[164:165], v[14:15], -v[18:19]
	v_add_f64_e64 v[235:236], v[18:19], -v[14:15]
	v_add_f64_e32 v[134:135], v[134:135], v[138:139]
	v_add_f64_e64 v[138:139], v[24:25], -v[36:37]
	v_add_f64_e32 v[152:153], v[152:153], v[177:178]
	;; [unrolled: 2-line block ×3, first 2 shown]
	v_add_f64_e32 v[183:184], v[183:184], v[185:186]
	v_add_f64_e64 v[185:186], v[48:49], -v[52:53]
	v_add_f64_e64 v[106:107], v[106:107], -v[102:103]
	;; [unrolled: 1-line block ×4, first 2 shown]
	v_add_f64_e32 v[148:149], v[148:149], v[34:35]
	v_fma_f64 v[124:125], v[124:125], -0.5, v[4:5]
	v_add_f64_e64 v[34:35], v[34:35], -v[38:39]
	v_add_f64_e32 v[150:151], v[150:151], v[18:19]
	v_add_f64_e32 v[126:127], v[30:31], v[42:43]
	v_fma_f64 v[26:27], v[78:79], v[72:73], v[26:27]
	v_fma_f64 v[58:59], v[82:83], v[72:73], -v[74:75]
	v_add_f64_e32 v[72:73], v[162:163], v[168:169]
	v_lshlrev_b32_e32 v78, 3, v192
	v_add_f64_e32 v[74:75], v[160:161], v[175:176]
	v_add_f64_e32 v[82:83], v[110:111], v[104:105]
	v_add_f64_e64 v[191:192], v[100:101], -v[104:105]
	v_add_f64_e32 v[66:67], v[66:67], v[170:171]
	v_add3_u32 v79, 0, v77, v78
	v_mul_u32_u24_e32 v77, 0x258, v194
	v_lshlrev_b32_e32 v78, 3, v220
	v_add_f64_e64 v[227:228], v[42:43], -v[38:39]
	v_add_f64_e64 v[231:232], v[38:39], -v[42:43]
	v_add_f64_e32 v[94:95], v[94:95], v[175:176]
	v_add_f64_e64 v[162:163], v[162:163], -v[168:169]
	v_add3_u32 v78, 0, v77, v78
	v_mul_u32_u24_e32 v77, 0x258, v193
	v_add_f64_e64 v[193:194], v[110:111], -v[114:115]
	v_add_f64_e32 v[221:222], v[221:222], v[223:224]
	v_add_f64_e64 v[110:111], v[110:111], -v[104:105]
	v_add_f64_e32 v[104:105], v[140:141], v[104:105]
	v_add3_u32 v77, 0, v77, v84
	v_mul_u32_u24_e32 v84, 0x258, v219
	v_add_f64_e64 v[219:220], v[92:93], -v[102:103]
	v_add_f64_e64 v[114:115], v[114:115], -v[100:101]
	;; [unrolled: 1-line block ×4, first 2 shown]
	v_add3_u32 v85, 0, v84, v85
	v_add3_u32 v84, 0, v86, v87
	ds_load_2addr_b64 v[86:89], v195 offset1:125
	v_add_f64_e32 v[102:103], v[144:145], v[102:103]
	v_add_f64_e32 v[148:149], v[148:149], v[38:39]
	v_add_f64_e64 v[38:39], v[112:113], -v[96:97]
	v_add_f64_e32 v[150:151], v[150:151], v[22:23]
	v_fma_f64 v[4:5], v[126:127], -0.5, v[4:5]
	v_add_f64_e32 v[130:131], v[14:15], v[26:27]
	v_fma_f64 v[126:127], v[128:129], -0.5, v[6:7]
	v_fma_f64 v[72:73], v[72:73], -0.5, v[0:1]
	;; [unrolled: 1-line block ×3, first 2 shown]
	v_add_f64_e64 v[170:171], v[46:47], -v[58:59]
	v_fma_f64 v[60:61], v[74:75], -0.5, v[2:3]
	v_fma_f64 v[2:3], v[80:81], -0.5, v[2:3]
	v_add_f64_e64 v[80:81], v[154:155], -v[156:157]
	v_fma_f64 v[82:83], v[82:83], -0.5, v[8:9]
	v_fma_f64 v[8:9], v[90:91], -0.5, v[8:9]
	;; [unrolled: 1-line block ×4, first 2 shown]
	v_add_f64_e64 v[120:121], v[98:99], -v[166:167]
	v_add_f64_e64 v[122:123], v[146:147], -v[96:97]
	;; [unrolled: 1-line block ×5, first 2 shown]
	v_add_f64_e32 v[193:194], v[193:194], v[215:216]
	v_add_f64_e64 v[215:216], v[50:51], -v[54:55]
	v_add_f64_e32 v[187:188], v[187:188], v[191:192]
	v_add_f64_e64 v[191:192], v[44:45], -v[56:57]
	s_wait_dscnt 0x0
	v_add_f64_e32 v[181:182], v[86:87], v[154:155]
	v_add_f64_e32 v[66:67], v[66:67], v[168:169]
	;; [unrolled: 1-line block ×8, first 2 shown]
	v_fma_f64 v[132:133], v[132:133], -0.5, v[86:87]
	v_add_f64_e32 v[92:93], v[102:103], v[92:93]
	v_add_f64_e32 v[102:103], v[44:45], v[56:57]
	v_add_f64_e64 v[14:15], v[14:15], -v[26:27]
	v_add_f64_e32 v[148:149], v[148:149], v[42:43]
	v_add_f64_e64 v[42:43], v[142:143], -v[146:147]
	v_add_f64_e32 v[150:151], v[150:151], v[26:27]
	v_fma_f64 v[237:238], v[185:186], s[14:15], v[4:5]
	v_fma_f64 v[6:7], v[130:131], -0.5, v[6:7]
	v_add_f64_e64 v[130:131], v[160:161], -v[175:176]
	v_fma_f64 v[219:220], v[70:71], s[14:15], v[72:73]
	v_fma_f64 v[72:73], v[70:71], s[12:13], v[72:73]
	v_add_f64_e64 v[160:161], v[16:17], -v[32:33]
	v_fma_f64 v[175:176], v[68:69], s[12:13], v[0:1]
	v_fma_f64 v[0:1], v[68:69], s[14:15], v[0:1]
	;; [unrolled: 1-line block ×5, first 2 shown]
	v_add_f64_e32 v[80:81], v[80:81], v[120:121]
	v_fma_f64 v[120:121], v[122:123], s[14:15], v[2:3]
	v_fma_f64 v[227:228], v[122:123], s[12:13], v[2:3]
	;; [unrolled: 1-line block ×4, first 2 shown]
	v_add_f64_e32 v[164:165], v[164:165], v[233:234]
	v_add_f64_e32 v[74:75], v[235:236], v[74:75]
	v_fma_f64 v[233:234], v[138:139], s[14:15], v[10:11]
	v_fma_f64 v[235:236], v[177:178], s[12:13], v[90:91]
	;; [unrolled: 1-line block ×6, first 2 shown]
	v_add_f64_e32 v[136:137], v[181:182], v[156:157]
	v_add_f64_e64 v[156:157], v[156:157], -v[154:155]
	v_add_f64_e32 v[154:155], v[154:155], v[98:99]
	v_add_f64_e32 v[181:182], v[146:147], v[96:97]
	;; [unrolled: 1-line block ×3, first 2 shown]
	v_fma_f64 v[168:169], v[215:216], s[14:15], v[6:7]
	v_fma_f64 v[6:7], v[215:216], s[12:13], v[6:7]
	;; [unrolled: 1-line block ×12, first 2 shown]
	ds_load_2addr_b64 v[0:3], v197 offset0:116 offset1:241
	v_fma_f64 v[120:121], v[128:129], s[6:7], v[120:121]
	v_fma_f64 v[128:129], v[128:129], s[10:11], v[227:228]
	v_fma_f64 v[227:228], v[122:123], s[6:7], v[229:230]
	v_fma_f64 v[60:61], v[122:123], s[10:11], v[60:61]
	v_fma_f64 v[229:230], v[160:161], s[6:7], v[231:232]
	v_add_f64_e32 v[160:161], v[16:17], v[32:33]
	v_fma_f64 v[231:232], v[177:178], s[6:7], v[233:234]
	v_fma_f64 v[233:234], v[138:139], s[6:7], v[235:236]
	;; [unrolled: 1-line block ×7, first 2 shown]
	v_add_f64_e32 v[177:178], v[20:21], v[28:29]
	v_add_f64_e32 v[138:139], v[24:25], v[36:37]
	;; [unrolled: 1-line block ×3, first 2 shown]
	v_fma_f64 v[86:87], v[154:155], -0.5, v[86:87]
	v_add_f64_e32 v[185:186], v[88:89], v[142:143]
	v_add_f64_e32 v[136:137], v[136:137], v[166:167]
	s_wait_dscnt 0x0
	v_fma_f64 v[104:105], v[104:105], -0.5, v[0:1]
	global_wb scope:SCOPE_SE
	s_barrier_signal -1
	s_barrier_wait -1
	global_inv scope:SCOPE_SE
	v_fma_f64 v[122:123], v[162:163], s[14:15], v[132:133]
	v_fma_f64 v[168:169], v[170:171], s[6:7], v[168:169]
	v_fma_f64 v[6:7], v[170:171], s[10:11], v[6:7]
	v_fma_f64 v[219:220], v[134:135], s[2:3], v[219:220]
	v_fma_f64 v[68:69], v[134:135], s[2:3], v[68:69]
	v_fma_f64 v[72:73], v[215:216], s[6:7], v[72:73]
	v_fma_f64 v[126:127], v[215:216], s[10:11], v[126:127]
	v_fma_f64 v[140:141], v[64:65], s[6:7], v[140:141]
	v_fma_f64 v[8:9], v[64:65], s[10:11], v[8:9]
	v_add_f64_e32 v[64:65], v[142:143], v[112:113]
	v_add_f64_e32 v[134:135], v[50:51], v[54:55]
	v_fma_f64 v[154:155], v[62:63], s[2:3], v[175:176]
	v_fma_f64 v[62:63], v[62:63], s[2:3], v[70:71]
	;; [unrolled: 1-line block ×16, first 2 shown]
	v_add_f64_e32 v[170:171], v[116:117], v[20:21]
	v_add_f64_e32 v[215:216], v[118:119], v[12:13]
	v_fma_f64 v[138:139], v[138:139], -0.5, v[118:119]
	v_fma_f64 v[118:119], v[191:192], -0.5, v[118:119]
	v_add_f64_e64 v[166:167], v[166:167], -v[98:99]
	v_fma_f64 v[132:133], v[162:163], s[12:13], v[132:133]
	v_fma_f64 v[122:123], v[179:180], s[10:11], v[122:123]
	;; [unrolled: 1-line block ×6, first 2 shown]
	v_add_f64_e32 v[126:127], v[46:47], v[58:59]
	v_fma_f64 v[140:141], v[193:194], s[2:3], v[140:141]
	v_fma_f64 v[8:9], v[193:194], s[2:3], v[8:9]
	v_fma_f64 v[164:165], v[181:182], -0.5, v[88:89]
	v_fma_f64 v[64:65], v[64:65], -0.5, v[88:89]
	;; [unrolled: 1-line block ×4, first 2 shown]
	v_add_f64_e32 v[181:182], v[0:1], v[44:45]
	v_fma_f64 v[0:1], v[102:103], -0.5, v[0:1]
	ds_store_2addr_b64 v76, v[66:67], v[154:155] offset1:15
	ds_store_2addr_b64 v76, v[219:220], v[68:69] offset0:30 offset1:45
	ds_store_b64 v76, v[62:63] offset:480
	ds_store_2addr_b64 v79, v[94:95], v[128:129] offset1:15
	ds_store_2addr_b64 v79, v[70:71], v[120:121] offset0:30 offset1:45
	ds_store_b64 v79, v[60:61] offset:480
	;; [unrolled: 3-line block ×6, first 2 shown]
	v_add_f64_e32 v[10:11], v[2:3], v[46:47]
	v_fma_f64 v[60:61], v[134:135], -0.5, v[2:3]
	v_fma_f64 v[102:103], v[179:180], s[12:13], v[86:87]
	v_fma_f64 v[86:87], v[179:180], s[14:15], v[86:87]
	v_fma_f64 v[2:3], v[126:127], -0.5, v[2:3]
	v_add_f64_e32 v[4:5], v[185:186], v[146:147]
	v_add_f64_e64 v[6:7], v[146:147], -v[142:143]
	v_fma_f64 v[8:9], v[158:159], s[14:15], v[164:165]
	v_fma_f64 v[26:27], v[130:131], s[12:13], v[64:65]
	;; [unrolled: 1-line block ×3, first 2 shown]
	v_add_f64_e64 v[64:65], v[96:97], -v[112:113]
	v_add_f64_e32 v[160:161], v[136:137], v[98:99]
	v_fma_f64 v[22:23], v[158:159], s[12:13], v[164:165]
	v_add_f64_e64 v[66:67], v[20:21], -v[16:17]
	v_add_f64_e64 v[68:69], v[28:29], -v[32:33]
	v_add_f64_e32 v[70:71], v[170:171], v[16:17]
	v_add_f64_e64 v[16:17], v[16:17], -v[20:21]
	v_fma_f64 v[20:21], v[114:115], s[14:15], v[88:89]
	v_fma_f64 v[72:73], v[114:115], s[12:13], v[88:89]
	;; [unrolled: 1-line block ×4, first 2 shown]
	v_add_f64_e64 v[88:89], v[32:33], -v[28:29]
	v_add_f64_e64 v[90:91], v[12:13], -v[24:25]
	;; [unrolled: 1-line block ×3, first 2 shown]
	v_add_f64_e32 v[94:95], v[215:216], v[24:25]
	v_add_f64_e64 v[12:13], v[24:25], -v[12:13]
	v_fma_f64 v[24:25], v[108:109], s[14:15], v[138:139]
	v_fma_f64 v[98:99], v[108:109], s[12:13], v[138:139]
	;; [unrolled: 1-line block ×4, first 2 shown]
	v_add_f64_e64 v[118:119], v[36:37], -v[40:41]
	v_add_f64_e64 v[120:121], v[44:45], -v[48:49]
	;; [unrolled: 1-line block ×3, first 2 shown]
	v_add_f64_e32 v[126:127], v[181:182], v[48:49]
	v_add_f64_e64 v[44:45], v[48:49], -v[44:45]
	v_fma_f64 v[48:49], v[30:31], s[14:15], v[104:105]
	v_fma_f64 v[128:129], v[34:35], s[12:13], v[0:1]
	;; [unrolled: 1-line block ×3, first 2 shown]
	v_add_f64_e64 v[134:135], v[52:53], -v[56:57]
	v_fma_f64 v[104:105], v[30:31], s[12:13], v[104:105]
	v_add_f64_e64 v[136:137], v[46:47], -v[50:51]
	v_add_f64_e64 v[138:139], v[58:59], -v[54:55]
	v_add_f64_e32 v[10:11], v[10:11], v[50:51]
	v_add_f64_e64 v[46:47], v[50:51], -v[46:47]
	v_fma_f64 v[50:51], v[14:15], s[14:15], v[60:61]
	v_add_f64_e64 v[140:141], v[54:55], -v[58:59]
	v_fma_f64 v[142:143], v[18:19], s[12:13], v[2:3]
	v_fma_f64 v[2:3], v[18:19], s[14:15], v[2:3]
	;; [unrolled: 1-line block ×3, first 2 shown]
	v_add_f64_e32 v[156:157], v[156:157], v[166:167]
	v_fma_f64 v[102:103], v[162:163], s[10:11], v[102:103]
	v_fma_f64 v[86:87], v[162:163], s[6:7], v[86:87]
	;; [unrolled: 1-line block ×4, first 2 shown]
	v_add_f64_e32 v[42:43], v[4:5], v[96:97]
	v_add_f64_e32 v[64:65], v[6:7], v[64:65]
	v_fma_f64 v[26:27], v[158:159], s[10:11], v[26:27]
	v_fma_f64 v[62:63], v[158:159], s[6:7], v[62:63]
	;; [unrolled: 1-line block ×3, first 2 shown]
	v_add_f64_e32 v[66:67], v[66:67], v[68:69]
	v_fma_f64 v[20:21], v[110:111], s[10:11], v[20:21]
	v_fma_f64 v[68:69], v[110:111], s[6:7], v[72:73]
	v_add_f64_e32 v[70:71], v[70:71], v[32:33]
	v_add_f64_e32 v[16:17], v[16:17], v[88:89]
	v_fma_f64 v[72:73], v[114:115], s[10:11], v[74:75]
	v_fma_f64 v[74:75], v[114:115], s[6:7], v[82:83]
	v_add_f64_e32 v[82:83], v[90:91], v[92:93]
	v_fma_f64 v[24:25], v[106:107], s[10:11], v[24:25]
	v_fma_f64 v[88:89], v[106:107], s[6:7], v[98:99]
	v_add_f64_e32 v[36:37], v[94:95], v[36:37]
	v_add_f64_e32 v[12:13], v[12:13], v[118:119]
	v_fma_f64 v[90:91], v[108:109], s[10:11], v[100:101]
	v_fma_f64 v[100:101], v[108:109], s[6:7], v[116:117]
	v_add_f64_e32 v[106:107], v[120:121], v[124:125]
	v_fma_f64 v[48:49], v[34:35], s[10:11], v[48:49]
	v_add_f64_e32 v[52:53], v[126:127], v[52:53]
	v_add_f64_e32 v[44:45], v[44:45], v[134:135]
	v_fma_f64 v[108:109], v[30:31], s[10:11], v[128:129]
	v_fma_f64 v[30:31], v[30:31], s[6:7], v[0:1]
	;; [unrolled: 1-line block ×3, first 2 shown]
	v_add_f64_e32 v[110:111], v[136:137], v[138:139]
	v_add_f64_e32 v[10:11], v[10:11], v[54:55]
	v_fma_f64 v[50:51], v[18:19], s[10:11], v[50:51]
	v_add_f64_e32 v[46:47], v[46:47], v[140:141]
	v_fma_f64 v[54:55], v[14:15], s[10:11], v[142:143]
	v_fma_f64 v[14:15], v[14:15], s[6:7], v[2:3]
	;; [unrolled: 1-line block ×7, first 2 shown]
	global_wb scope:SCOPE_SE
	s_wait_dscnt 0x0
	v_add_f64_e32 v[102:103], v[42:43], v[112:113]
	v_fma_f64 v[112:113], v[38:39], s[2:3], v[8:9]
	v_fma_f64 v[116:117], v[64:65], s[2:3], v[26:27]
	;; [unrolled: 1-line block ×4, first 2 shown]
	s_barrier_signal -1
	s_barrier_wait -1
	global_inv scope:SCOPE_SE
	v_add_f64_e32 v[64:65], v[70:71], v[28:29]
	v_fma_f64 v[70:71], v[66:67], s[2:3], v[20:21]
	v_fma_f64 v[66:67], v[66:67], s[2:3], v[68:69]
	;; [unrolled: 1-line block ×6, first 2 shown]
	v_add_f64_e32 v[74:75], v[36:37], v[40:41]
	ds_load_2addr_b64 v[4:7], v195 offset1:125
	ds_load_2addr_b64 v[0:3], v196 offset0:122 offset1:247
	ds_load_2addr_b64 v[96:99], v200 offset0:110 offset1:235
	;; [unrolled: 1-line block ×4, first 2 shown]
	v_fma_f64 v[88:89], v[12:13], s[2:3], v[90:91]
	v_fma_f64 v[90:91], v[12:13], s[2:3], v[100:101]
	ds_load_2addr_b64 v[36:39], v203 offset0:86 offset1:211
	v_fma_f64 v[48:49], v[106:107], s[2:3], v[48:49]
	v_add_f64_e32 v[52:53], v[52:53], v[56:57]
	ds_load_2addr_b64 v[134:137], v199 offset0:74 offset1:199
	v_fma_f64 v[100:101], v[44:45], s[2:3], v[108:109]
	v_fma_f64 v[44:45], v[44:45], s[2:3], v[30:31]
	;; [unrolled: 1-line block ×3, first 2 shown]
	v_mov_b32_e32 v139, 0
	v_add_f64_e32 v[58:59], v[10:11], v[58:59]
	v_fma_f64 v[50:51], v[110:111], s[2:3], v[50:51]
	v_fma_f64 v[54:55], v[46:47], s[2:3], v[54:55]
	;; [unrolled: 1-line block ×4, first 2 shown]
	ds_load_2addr_b64 v[28:31], v204 offset0:68 offset1:193
	ds_load_2addr_b64 v[108:111], v198 offset0:56 offset1:181
	;; [unrolled: 1-line block ×8, first 2 shown]
	global_wb scope:SCOPE_SE
	s_wait_dscnt 0x0
	s_barrier_signal -1
	s_barrier_wait -1
	global_inv scope:SCOPE_SE
	ds_store_2addr_b64 v76, v[160:161], v[122:123] offset1:15
	ds_store_2addr_b64 v76, v[60:61], v[86:87] offset0:30 offset1:45
	ds_store_b64 v76, v[80:81] offset:480
	ds_store_2addr_b64 v79, v[102:103], v[112:113] offset1:15
	ds_store_2addr_b64 v79, v[116:117], v[62:63] offset0:30 offset1:45
	v_mul_lo_u16 v60, 0xdb, v190
	v_add_nc_u32_e32 v61, 0xffffffb5, v174
	ds_store_b64 v79, v[114:115] offset:480
	ds_store_2addr_b64 v78, v[64:65], v[70:71] offset1:15
	ds_store_2addr_b64 v78, v[68:69], v[72:73] offset0:30 offset1:45
	v_lshrrev_b16 v215, 14, v60
	v_cndmask_b32_e64 v216, v61, v174, s0
	ds_store_b64 v78, v[66:67] offset:480
	ds_store_2addr_b64 v77, v[74:75], v[118:119] offset1:15
	v_mul_lo_u16 v60, 0x4b, v215
	ds_store_2addr_b64 v77, v[88:89], v[90:91] offset0:30 offset1:45
	ds_store_b64 v77, v[82:83] offset:480
	ds_store_2addr_b64 v85, v[52:53], v[48:49] offset1:15
	v_mul_i32_i24_e32 v138, 9, v216
	v_sub_nc_u16 v48, v212, v60
	ds_store_2addr_b64 v85, v[100:101], v[44:45] offset0:30 offset1:45
	ds_store_b64 v85, v[56:57] offset:480
	ds_store_2addr_b64 v84, v[58:59], v[50:51] offset1:15
	v_and_b32_e32 v217, 0xff, v48
	v_lshlrev_b64_e32 v[44:45], 4, v[138:139]
	ds_store_2addr_b64 v84, v[54:55], v[46:47] offset0:30 offset1:45
	ds_store_b64 v84, v[104:105] offset:480
	v_mul_u32_u24_e32 v46, 9, v217
	global_wb scope:SCOPE_SE
	s_wait_dscnt 0x0
	v_add_co_u32 v48, s0, s4, v44
	s_wait_alu 0xf1ff
	v_add_co_ci_u32_e64 v49, s0, s5, v45, s0
	v_lshlrev_b32_e32 v68, 4, v46
	s_barrier_signal -1
	s_barrier_wait -1
	global_inv scope:SCOPE_SE
	s_clause 0x1
	global_load_b128 v[126:129], v[48:49], off offset:1168
	global_load_b128 v[130:133], v68, s[4:5] offset:1168
	v_mul_u32_u24_e32 v44, 0xb4e9, v189
	s_clause 0x3
	global_load_b128 v[140:143], v[48:49], off offset:1200
	global_load_b128 v[185:188], v68, s[4:5] offset:1264
	global_load_b128 v[144:147], v68, s[4:5] offset:1200
	;; [unrolled: 1-line block ×3, first 2 shown]
	v_lshrrev_b32_e32 v44, 16, v44
	s_clause 0x1
	global_load_b128 v[154:157], v[48:49], off offset:1232
	global_load_b128 v[168:171], v[48:49], off offset:1264
	v_cmp_lt_u32_e64 s0, 0x4a, v174
	v_lshlrev_b32_e32 v216, 3, v216
	v_sub_nc_u16 v45, v213, v44
	v_and_b32_e32 v215, 0xffff, v215
	v_lshlrev_b32_e32 v217, 3, v217
	s_delay_alu instid0(VALU_DEP_3) | instskip(NEXT) | instid1(VALU_DEP_1)
	v_lshrrev_b16 v45, 1, v45
	v_add_nc_u16 v44, v45, v44
	s_delay_alu instid0(VALU_DEP_1) | instskip(NEXT) | instid1(VALU_DEP_1)
	v_lshrrev_b16 v218, 6, v44
	v_mul_lo_u16 v44, 0x4b, v218
	s_delay_alu instid0(VALU_DEP_1) | instskip(NEXT) | instid1(VALU_DEP_1)
	v_sub_nc_u16 v44, v213, v44
	v_and_b32_e32 v138, 0xffff, v44
	s_delay_alu instid0(VALU_DEP_1) | instskip(SKIP_1) | instid1(VALU_DEP_2)
	v_mul_u32_u24_e32 v44, 9, v138
	v_lshlrev_b32_e32 v138, 3, v138
	v_lshlrev_b32_e32 v84, 4, v44
	s_clause 0x12
	global_load_b128 v[191:194], v68, s[4:5] offset:1152
	global_load_b128 v[219:222], v84, s[4:5] offset:1152
	global_load_b128 v[80:83], v[48:49], off offset:1184
	global_load_b128 v[88:91], v84, s[4:5] offset:1168
	global_load_b128 v[116:119], v[48:49], off offset:1216
	;; [unrolled: 2-line block ×3, first 2 shown]
	global_load_b128 v[104:107], v[48:49], off offset:1248
	global_load_b128 v[44:47], v84, s[4:5] offset:1232
	global_load_b128 v[72:75], v84, s[4:5] offset:1264
	;; [unrolled: 1-line block ×4, first 2 shown]
	global_load_b128 v[60:63], v[48:49], off offset:1152
	global_load_b128 v[56:59], v68, s[4:5] offset:1216
	global_load_b128 v[52:55], v84, s[4:5] offset:1216
	;; [unrolled: 1-line block ×6, first 2 shown]
	ds_load_2addr_b64 v[158:161], v200 offset0:110 offset1:235
	ds_load_2addr_b64 v[175:178], v201 offset0:92 offset1:217
	;; [unrolled: 1-line block ×5, first 2 shown]
	s_wait_loadcnt_dscnt 0x1a04
	v_mul_f64_e32 v[120:121], v[158:159], v[128:129]
	s_wait_loadcnt 0x19
	v_mul_f64_e32 v[150:151], v[160:161], v[132:133]
	v_mul_f64_e32 v[128:129], v[96:97], v[128:129]
	;; [unrolled: 1-line block ×3, first 2 shown]
	s_wait_loadcnt_dscnt 0x1803
	v_mul_f64_e32 v[162:163], v[175:176], v[142:143]
	s_wait_loadcnt 0x16
	v_mul_f64_e32 v[179:180], v[177:178], v[146:147]
	v_mul_f64_e32 v[142:143], v[92:93], v[142:143]
	;; [unrolled: 1-line block ×3, first 2 shown]
	s_wait_loadcnt_dscnt 0x1402
	v_mul_f64_e32 v[231:232], v[181:182], v[156:157]
	v_mul_f64_e32 v[156:157], v[134:135], v[156:157]
	s_wait_dscnt 0x1
	v_mul_f64_e32 v[235:236], v[225:226], v[187:188]
	v_mul_f64_e32 v[187:188], v[110:111], v[187:188]
	s_wait_loadcnt 0x13
	v_mul_f64_e32 v[233:234], v[108:109], v[170:171]
	v_fma_f64 v[152:153], v[96:97], v[126:127], v[120:121]
	v_mul_f64_e32 v[96:97], v[183:184], v[166:167]
	v_fma_f64 v[150:151], v[98:99], v[130:131], v[150:151]
	v_mul_f64_e32 v[98:99], v[136:137], v[166:167]
	v_mul_f64_e32 v[120:121], v[223:224], v[170:171]
	s_wait_loadcnt_dscnt 0x1200
	v_mul_f64_e32 v[237:238], v[227:228], v[193:194]
	v_mul_f64_e32 v[239:240], v[40:41], v[193:194]
	v_fma_f64 v[148:149], v[158:159], v[126:127], -v[128:129]
	v_fma_f64 v[146:147], v[160:161], v[130:131], -v[132:133]
	ds_load_2addr_b64 v[130:133], v202 offset0:104 offset1:229
	v_fma_f64 v[160:161], v[92:93], v[140:141], v[162:163]
	v_fma_f64 v[162:163], v[94:95], v[144:145], v[179:180]
	s_wait_loadcnt 0x11
	v_mul_f64_e32 v[241:242], v[229:230], v[221:222]
	ds_load_2addr_b64 v[126:129], v203 offset0:86 offset1:211
	v_mul_f64_e32 v[221:222], v[42:43], v[221:222]
	ds_load_2addr_b64 v[92:95], v204 offset0:68 offset1:193
	v_fma_f64 v[142:143], v[175:176], v[140:141], -v[142:143]
	v_fma_f64 v[158:159], v[134:135], v[154:155], v[231:232]
	v_fma_f64 v[140:141], v[181:182], v[154:155], -v[156:157]
	v_fma_f64 v[144:145], v[177:178], v[144:145], -v[189:190]
	s_wait_loadcnt 0x10
	v_mul_f64_e32 v[181:182], v[34:35], v[82:83]
	s_wait_loadcnt 0xe
	v_mul_f64_e32 v[166:167], v[38:39], v[118:119]
	;; [unrolled: 2-line block ×4, first 2 shown]
	s_wait_dscnt 0x2
	v_mul_f64_e32 v[170:171], v[132:133], v[82:83]
	v_mul_f64_e32 v[177:178], v[130:131], v[90:91]
	v_fma_f64 v[82:83], v[223:224], v[168:169], -v[233:234]
	s_wait_dscnt 0x1
	v_mul_f64_e32 v[175:176], v[128:129], v[118:119]
	v_mul_f64_e32 v[179:180], v[126:127], v[114:115]
	v_fma_f64 v[156:157], v[136:137], v[164:165], v[96:97]
	v_fma_f64 v[136:137], v[110:111], v[185:186], v[235:236]
	v_fma_f64 v[134:135], v[183:184], v[164:165], -v[98:99]
	ds_load_2addr_b64 v[96:99], v205 offset0:50 offset1:175
	v_mul_f64_e32 v[183:184], v[32:33], v[90:91]
	v_fma_f64 v[90:91], v[225:226], v[185:186], -v[187:188]
	s_wait_dscnt 0x1
	v_mul_f64_e32 v[187:188], v[94:95], v[106:107]
	v_fma_f64 v[154:155], v[108:109], v[168:169], v[120:121]
	v_mul_f64_e32 v[168:169], v[26:27], v[102:103]
	v_fma_f64 v[164:165], v[40:41], v[191:192], v[237:238]
	v_fma_f64 v[114:115], v[227:228], v[191:192], -v[239:240]
	s_wait_loadcnt 0xa
	v_mul_f64_e32 v[191:192], v[92:93], v[46:47]
	ds_load_2addr_b64 v[108:111], v206 offset0:98 offset1:223
	v_fma_f64 v[106:107], v[42:43], v[219:220], v[241:242]
	ds_load_2addr_b64 v[40:43], v196 offset0:122 offset1:247
	ds_load_2addr_b64 v[118:121], v208 offset0:80 offset1:205
	;; [unrolled: 1-line block ×3, first 2 shown]
	s_wait_alu 0xf1ff
	v_cndmask_b32_e64 v235, 0, 0x1770, s0
	v_mul_u32_u24_e32 v237, 0x1770, v215
	v_fma_f64 v[132:133], v[132:133], v[80:81], -v[181:182]
	s_wait_loadcnt 0x7
	v_mul_f64_e32 v[181:182], v[22:23], v[66:67]
	s_mov_b32 s0, s18
	v_add3_u32 v235, 0, v235, v216
	s_wait_dscnt 0x4
	v_mul_f64_e32 v[185:186], v[98:99], v[102:103]
	v_mul_f64_e32 v[227:228], v[96:97], v[74:75]
	v_fma_f64 v[102:103], v[229:230], v[219:220], -v[221:222]
	ds_load_2addr_b64 v[219:222], v209 offset0:62 offset1:187
	v_mul_f64_e32 v[74:75], v[24:25], v[74:75]
	v_fma_f64 v[170:171], v[34:35], v[80:81], v[170:171]
	v_fma_f64 v[80:81], v[32:33], v[88:89], v[177:178]
	v_fma_f64 v[34:35], v[126:127], v[112:113], -v[193:194]
	s_wait_loadcnt 0x4
	v_mul_f64_e32 v[126:127], v[18:19], v[54:55]
	s_wait_dscnt 0x4
	v_mul_f64_e32 v[177:178], v[108:109], v[124:125]
	v_mul_f64_e32 v[124:125], v[20:21], v[124:125]
	v_fma_f64 v[36:37], v[36:37], v[112:113], v[179:180]
	s_wait_dscnt 0x2
	v_mul_f64_e32 v[112:113], v[120:121], v[54:55]
	v_fma_f64 v[32:33], v[94:95], v[104:105], -v[189:190]
	s_wait_loadcnt 0x3
	v_mul_f64_e32 v[94:95], v[12:13], v[50:51]
	s_wait_loadcnt_dscnt 0x1
	v_mul_f64_e32 v[179:180], v[225:226], v[86:87]
	v_mul_f64_e32 v[86:87], v[10:11], v[86:87]
	v_add_f64_e64 v[189:190], v[136:137], -v[156:157]
	v_add_f64_e64 v[229:230], v[162:163], -v[150:151]
	v_fma_f64 v[88:89], v[130:131], v[88:89], -v[183:184]
	v_mul_f64_e32 v[130:131], v[110:111], v[66:67]
	v_mul_f64_e32 v[183:184], v[2:3], v[62:63]
	v_fma_f64 v[66:67], v[128:129], v[116:117], -v[166:167]
	v_fma_f64 v[116:117], v[38:39], v[116:117], v[175:176]
	v_mul_f64_e32 v[62:63], v[42:43], v[62:63]
	v_mul_f64_e32 v[128:129], v[118:119], v[58:59]
	;; [unrolled: 1-line block ×4, first 2 shown]
	s_wait_dscnt 0x0
	v_mul_f64_e32 v[175:176], v[219:220], v[50:51]
	v_fma_f64 v[54:55], v[30:31], v[104:105], v[187:188]
	v_mul_f64_e32 v[104:105], v[223:224], v[70:71]
	v_mul_f64_e32 v[70:71], v[8:9], v[70:71]
	v_fma_f64 v[30:31], v[98:99], v[100:101], -v[168:169]
	v_mul_f64_e32 v[168:169], v[221:222], v[78:79]
	v_mul_f64_e32 v[78:79], v[14:15], v[78:79]
	v_add_f64_e64 v[187:188], v[150:151], -v[162:163]
	v_add_nc_u32_e32 v236, 0x800, v235
	v_fma_f64 v[38:39], v[26:27], v[100:101], v[185:186]
	v_fma_f64 v[26:27], v[28:29], v[44:45], v[191:192]
	;; [unrolled: 1-line block ×3, first 2 shown]
	ds_load_2addr_b64 v[98:101], v195 offset1:125
	v_add_f64_e32 v[191:192], v[6:7], v[150:151]
	global_wb scope:SCOPE_SE
	s_wait_dscnt 0x0
	v_add_f64_e32 v[227:228], v[0:1], v[80:81]
	s_barrier_signal -1
	s_barrier_wait -1
	v_fma_f64 v[50:51], v[20:21], v[122:123], v[177:178]
	v_fma_f64 v[46:47], v[108:109], v[122:123], -v[124:125]
	v_fma_f64 v[20:21], v[96:97], v[72:73], -v[74:75]
	v_add_f64_e32 v[72:73], v[152:153], v[154:155]
	v_add_f64_e32 v[74:75], v[160:161], v[158:159]
	;; [unrolled: 1-line block ×3, first 2 shown]
	v_fma_f64 v[10:11], v[10:11], v[84:85], v[179:180]
	v_add_f64_e32 v[179:180], v[4:5], v[152:153]
	global_inv scope:SCOPE_SE
	v_add_f64_e64 v[122:123], v[132:133], -v[66:67]
	v_add_f64_e64 v[96:97], v[170:171], -v[116:117]
	v_fma_f64 v[62:63], v[2:3], v[60:61], v[62:63]
	v_fma_f64 v[60:61], v[42:43], v[60:61], -v[183:184]
	v_fma_f64 v[2:3], v[225:226], v[84:85], -v[86:87]
	;; [unrolled: 1-line block ×3, first 2 shown]
	v_fma_f64 v[58:59], v[22:23], v[64:65], v[130:131]
	v_fma_f64 v[44:45], v[110:111], v[64:65], -v[181:182]
	v_fma_f64 v[64:65], v[16:17], v[56:57], v[128:129]
	v_fma_f64 v[22:23], v[118:119], v[56:57], -v[166:167]
	;; [unrolled: 2-line block ×3, first 2 shown]
	v_fma_f64 v[42:43], v[8:9], v[68:69], v[104:105]
	v_fma_f64 v[52:53], v[12:13], v[48:49], v[175:176]
	v_fma_f64 v[16:17], v[219:220], v[48:49], -v[94:95]
	v_fma_f64 v[8:9], v[223:224], v[68:69], -v[70:71]
	v_fma_f64 v[14:15], v[14:15], v[76:77], v[168:169]
	v_fma_f64 v[12:13], v[221:222], v[76:77], -v[78:79]
	v_add_f64_e32 v[76:77], v[162:163], v[156:157]
	v_add_f64_e32 v[92:93], v[36:37], v[26:27]
	;; [unrolled: 1-line block ×3, first 2 shown]
	v_add_f64_e64 v[70:71], v[152:153], -v[160:161]
	v_add_f64_e64 v[84:85], v[154:155], -v[158:159]
	v_add_f64_e32 v[86:87], v[170:171], v[38:39]
	v_add_f64_e32 v[104:105], v[116:117], v[54:55]
	v_add_f64_e32 v[48:49], v[132:133], v[30:31]
	v_add_f64_e32 v[68:69], v[66:67], v[32:33]
	v_add_f64_e32 v[78:79], v[150:151], v[136:137]
	v_add_f64_e32 v[110:111], v[148:149], v[82:83]
	v_add_f64_e32 v[112:113], v[144:145], v[134:135]
	v_add_f64_e32 v[118:119], v[146:147], v[90:91]
	v_add_f64_e64 v[120:121], v[38:39], -v[54:55]
	v_add_f64_e64 v[124:125], v[30:31], -v[32:33]
	;; [unrolled: 1-line block ×8, first 2 shown]
	v_fma_f64 v[72:73], v[72:73], -0.5, v[4:5]
	v_add_f64_e32 v[130:131], v[62:63], v[170:171]
	v_fma_f64 v[4:5], v[74:75], -0.5, v[4:5]
	v_add_f64_e32 v[233:234], v[164:165], v[50:51]
	v_fma_f64 v[108:109], v[108:109], -0.5, v[98:99]
	v_add_f64_e64 v[170:171], v[170:171], -v[38:39]
	v_add_f64_e32 v[187:188], v[187:188], v[189:190]
	v_add_f64_e64 v[193:194], v[50:51], -v[64:65]
	v_add_f64_e64 v[221:222], v[46:47], -v[22:23]
	;; [unrolled: 1-line block ×3, first 2 shown]
	v_add_f64_e32 v[179:180], v[179:180], v[160:161]
	v_add_f64_e32 v[185:186], v[50:51], v[42:43]
	v_add_f64_e64 v[219:220], v[42:43], -v[52:53]
	v_add_f64_e32 v[225:226], v[64:65], v[52:53]
	v_add_f64_e64 v[223:224], v[8:9], -v[16:17]
	v_add_f64_e64 v[231:232], v[52:53], -v[42:43]
	v_add_f64_e32 v[191:192], v[191:192], v[162:163]
	v_fma_f64 v[74:75], v[76:77], -0.5, v[6:7]
	v_add_f64_e64 v[76:77], v[156:157], -v[136:137]
	v_fma_f64 v[92:93], v[92:93], -0.5, v[0:1]
	v_fma_f64 v[0:1], v[94:95], -0.5, v[0:1]
	v_add_f64_e64 v[94:95], v[64:65], -v[50:51]
	v_add_f64_e32 v[70:71], v[70:71], v[84:85]
	v_add_f64_e64 v[84:85], v[22:23], -v[46:47]
	v_fma_f64 v[86:87], v[86:87], -0.5, v[62:63]
	v_fma_f64 v[62:63], v[104:105], -0.5, v[62:63]
	v_add_f64_e64 v[104:105], v[16:17], -v[8:9]
	v_fma_f64 v[6:7], v[78:79], -0.5, v[6:7]
	v_add_f64_e32 v[78:79], v[98:99], v[148:149]
	v_fma_f64 v[98:99], v[110:111], -0.5, v[98:99]
	v_fma_f64 v[110:111], v[112:113], -0.5, v[100:101]
	;; [unrolled: 1-line block ×3, first 2 shown]
	v_add_f64_e64 v[118:119], v[116:117], -v[54:55]
	v_add_f64_e32 v[96:97], v[96:97], v[120:121]
	v_add_f64_e64 v[120:121], v[80:81], -v[36:37]
	v_add_f64_e32 v[122:123], v[122:123], v[124:125]
	;; [unrolled: 2-line block ×6, first 2 shown]
	v_add_f64_e64 v[183:184], v[2:3], -v[12:13]
	v_fma_f64 v[48:49], v[48:49], -0.5, v[60:61]
	v_fma_f64 v[68:69], v[68:69], -0.5, v[60:61]
	v_add_f64_e32 v[233:234], v[233:234], v[64:65]
	v_add_f64_e32 v[60:61], v[60:61], v[132:133]
	v_fma_f64 v[185:186], v[185:186], -0.5, v[164:165]
	v_add_f64_e32 v[193:194], v[193:194], v[219:220]
	v_add_f64_e64 v[219:220], v[26:27], -v[24:25]
	v_add_f64_e32 v[221:222], v[221:222], v[223:224]
	v_add_f64_e64 v[223:224], v[56:57], -v[58:59]
	v_fma_f64 v[164:165], v[225:226], -0.5, v[164:165]
	v_add_f64_e64 v[225:226], v[14:15], -v[10:11]
	v_add_f64_e32 v[76:77], v[229:230], v[76:77]
	v_add_f64_e64 v[229:230], v[18:19], -v[44:45]
	v_add_f64_e64 v[132:133], v[132:133], -v[30:31]
	v_add_f64_e32 v[94:95], v[94:95], v[231:232]
	v_add_f64_e64 v[231:232], v[12:13], -v[2:3]
	v_add_f64_e64 v[160:161], v[160:161], -v[158:159]
	;; [unrolled: 1-line block ×3, first 2 shown]
	v_add_f64_e32 v[158:159], v[179:180], v[158:159]
	v_add_f64_e32 v[84:85], v[84:85], v[104:105]
	v_add_f64_e64 v[104:105], v[66:67], -v[32:33]
	v_add_f64_e32 v[179:180], v[58:59], v[10:11]
	v_add_f64_e64 v[162:163], v[162:163], -v[156:157]
	;; [unrolled: 2-line block ×3, first 2 shown]
	v_add_f64_e64 v[152:153], v[152:153], -v[154:155]
	v_add_f64_e64 v[150:151], v[150:151], -v[136:137]
	v_add_f64_e32 v[126:127], v[34:35], v[28:29]
	v_add_f64_e32 v[128:129], v[88:89], v[20:21]
	v_add_f64_e32 v[120:121], v[120:121], v[124:125]
	v_add_f64_e64 v[124:125], v[142:143], -v[140:141]
	v_add_f64_e32 v[227:228], v[227:228], v[36:37]
	v_add_f64_e32 v[54:55], v[116:117], v[54:55]
	;; [unrolled: 1-line block ×5, first 2 shown]
	v_add_f64_e64 v[36:37], v[36:37], -v[26:27]
	v_add_f64_e32 v[177:178], v[177:178], v[183:184]
	v_fma_f64 v[168:169], v[118:119], s[12:13], v[48:49]
	v_fma_f64 v[48:49], v[118:119], s[14:15], v[48:49]
	v_add_f64_e32 v[52:53], v[233:234], v[52:53]
	v_add_f64_e32 v[60:61], v[60:61], v[66:67]
	v_add_f64_e64 v[66:67], v[22:23], -v[16:17]
	v_add_f64_e64 v[80:81], v[80:81], -v[24:25]
	v_add_f64_e32 v[183:184], v[189:190], v[219:220]
	v_fma_f64 v[189:190], v[170:171], s[14:15], v[68:69]
	v_fma_f64 v[68:69], v[170:171], s[12:13], v[68:69]
	v_add_f64_e64 v[219:220], v[148:149], -v[82:83]
	v_add_f64_e32 v[223:224], v[223:224], v[225:226]
	v_add_f64_e32 v[225:226], v[46:47], v[8:9]
	;; [unrolled: 1-line block ×3, first 2 shown]
	v_fma_f64 v[191:192], v[132:133], s[12:13], v[62:63]
	v_fma_f64 v[62:63], v[132:133], s[14:15], v[62:63]
	v_add_f64_e32 v[229:230], v[229:230], v[231:232]
	v_add_f64_e32 v[231:232], v[22:23], v[16:17]
	;; [unrolled: 1-line block ×3, first 2 shown]
	v_fma_f64 v[233:234], v[104:105], s[14:15], v[86:87]
	v_fma_f64 v[86:87], v[104:105], s[12:13], v[86:87]
	v_fma_f64 v[179:180], v[179:180], -0.5, v[106:107]
	v_add_f64_e32 v[136:137], v[156:157], v[136:137]
	v_add_f64_e64 v[156:157], v[88:89], -v[20:21]
	v_fma_f64 v[126:127], v[126:127], -0.5, v[40:41]
	v_fma_f64 v[128:129], v[128:129], -0.5, v[40:41]
	v_add_f64_e32 v[40:41], v[40:41], v[88:89]
	v_add_f64_e32 v[26:27], v[227:228], v[26:27]
	;; [unrolled: 1-line block ×3, first 2 shown]
	v_fma_f64 v[116:117], v[116:117], -0.5, v[106:107]
	v_add_f64_e32 v[106:107], v[106:107], v[58:59]
	v_add_f64_e64 v[58:59], v[58:59], -v[10:11]
	v_add_f64_e32 v[100:101], v[100:101], v[144:145]
	v_fma_f64 v[168:169], v[170:171], s[10:11], v[168:169]
	v_fma_f64 v[48:49], v[170:171], s[6:7], v[48:49]
	;; [unrolled: 1-line block ×4, first 2 shown]
	v_add_f64_e32 v[42:43], v[52:53], v[42:43]
	v_add_f64_e64 v[52:53], v[34:35], -v[28:29]
	v_add_f64_e32 v[32:33], v[60:61], v[32:33]
	v_fma_f64 v[189:190], v[118:119], s[10:11], v[189:190]
	v_fma_f64 v[68:69], v[118:119], s[6:7], v[68:69]
	;; [unrolled: 1-line block ×4, first 2 shown]
	v_fma_f64 v[225:226], v[225:226], -0.5, v[114:115]
	v_add_f64_e32 v[78:79], v[78:79], v[140:141]
	v_fma_f64 v[191:192], v[104:105], s[6:7], v[191:192]
	v_fma_f64 v[62:63], v[104:105], s[10:11], v[62:63]
	v_add_f64_e32 v[104:105], v[18:19], v[12:13]
	v_fma_f64 v[231:232], v[231:232], -0.5, v[114:115]
	v_add_f64_e32 v[114:115], v[114:115], v[46:47]
	v_add_f64_e64 v[46:47], v[46:47], -v[8:9]
	v_fma_f64 v[233:234], v[132:133], s[6:7], v[233:234]
	v_fma_f64 v[86:87], v[132:133], s[10:11], v[86:87]
	v_add_f64_e32 v[132:133], v[44:45], v[2:3]
	v_fma_f64 v[60:61], v[36:37], s[14:15], v[128:129]
	v_add_f64_e32 v[24:25], v[26:27], v[24:25]
	v_add_f64_e64 v[26:27], v[140:141], -v[82:83]
	v_add_f64_e32 v[106:107], v[106:107], v[56:57]
	v_add_f64_e64 v[56:57], v[56:57], -v[14:15]
	v_add_f64_e32 v[100:101], v[100:101], v[134:135]
	v_fma_f64 v[168:169], v[175:176], s[2:3], v[168:169]
	v_fma_f64 v[48:49], v[175:176], s[2:3], v[48:49]
	;; [unrolled: 1-line block ×6, first 2 shown]
	v_add_f64_e32 v[30:31], v[32:33], v[30:31]
	v_fma_f64 v[189:190], v[122:123], s[2:3], v[189:190]
	v_fma_f64 v[68:69], v[122:123], s[2:3], v[68:69]
	;; [unrolled: 1-line block ×8, first 2 shown]
	v_fma_f64 v[104:105], v[104:105], -0.5, v[102:103]
	v_fma_f64 v[54:55], v[50:51], s[14:15], v[231:232]
	v_fma_f64 v[231:232], v[50:51], s[12:13], v[231:232]
	;; [unrolled: 1-line block ×4, first 2 shown]
	v_add_f64_e32 v[22:23], v[114:115], v[22:23]
	v_fma_f64 v[86:87], v[166:167], s[2:3], v[86:87]
	v_fma_f64 v[132:133], v[132:133], -0.5, v[102:103]
	v_add_f64_e32 v[102:103], v[102:103], v[44:45]
	v_add_f64_e64 v[44:45], v[44:45], -v[2:3]
	v_add_f64_e32 v[114:115], v[136:137], v[42:43]
	v_add_f64_e64 v[42:43], v[136:137], -v[42:43]
	v_add_f64_e32 v[78:79], v[78:79], v[82:83]
	v_add_f64_e32 v[14:15], v[106:107], v[14:15]
	v_mul_f64_e32 v[96:97], s[12:13], v[168:169]
	v_fma_f64 v[170:171], v[181:182], s[2:3], v[170:171]
	v_fma_f64 v[72:73], v[181:182], s[2:3], v[72:73]
	;; [unrolled: 1-line block ×4, first 2 shown]
	v_add_f64_e64 v[185:186], v[144:145], -v[134:135]
	v_mul_f64_e32 v[215:216], s[6:7], v[189:190]
	v_fma_f64 v[181:182], v[52:53], s[14:15], v[0:1]
	v_fma_f64 v[0:1], v[52:53], s[12:13], v[0:1]
	;; [unrolled: 1-line block ×5, first 2 shown]
	v_add_f64_e64 v[225:226], v[146:147], -v[90:91]
	v_fma_f64 v[4:5], v[70:71], s[2:3], v[4:5]
	v_fma_f64 v[175:176], v[58:59], s[14:15], v[104:105]
	;; [unrolled: 1-line block ×4, first 2 shown]
	v_add_f64_e64 v[231:232], v[18:19], -v[12:13]
	v_fma_f64 v[158:159], v[66:67], s[6:7], v[158:159]
	v_fma_f64 v[66:67], v[66:67], s[10:11], v[164:165]
	;; [unrolled: 1-line block ×7, first 2 shown]
	v_add_f64_e32 v[18:19], v[102:103], v[18:19]
	v_add_f64_e32 v[16:17], v[22:23], v[16:17]
	;; [unrolled: 1-line block ×3, first 2 shown]
	v_add_f64_e64 v[14:15], v[134:135], -v[90:91]
	v_fma_f64 v[46:47], v[94:95], s[2:3], v[46:47]
	v_fma_f64 v[122:123], v[185:186], s[14:15], v[6:7]
	;; [unrolled: 1-line block ×21, first 2 shown]
	v_mul_f64_e32 v[166:167], s[12:13], v[48:49]
	v_fma_f64 v[116:117], v[44:45], s[14:15], v[116:117]
	v_add3_u32 v233, 0, v237, v217
	v_and_b32_e32 v217, 0xffff, v218
	v_fma_f64 v[70:71], v[52:53], s[6:7], v[70:71]
	v_fma_f64 v[52:53], v[52:53], s[10:11], v[92:93]
	v_add_nc_u32_e32 v234, 0xc00, v235
	v_add_f64_e64 v[92:93], v[90:91], -v[134:135]
	v_mul_u32_u24_e32 v238, 0x1770, v217
	v_mul_f64_e32 v[48:49], s[16:17], v[48:49]
	v_add_f64_e32 v[12:13], v[18:19], v[12:13]
	v_add_f64_e32 v[8:9], v[16:17], v[8:9]
	v_add_nc_u32_e32 v237, 0xc00, v233
	v_fma_f64 v[122:123], v[225:226], s[6:7], v[122:123]
	v_fma_f64 v[6:7], v[225:226], s[10:11], v[6:7]
	;; [unrolled: 1-line block ×7, first 2 shown]
	v_mul_f64_e32 v[225:226], s[6:7], v[64:65]
	v_fma_f64 v[185:186], v[44:45], s[6:7], v[221:222]
	v_fma_f64 v[44:45], v[44:45], s[10:11], v[179:180]
	;; [unrolled: 1-line block ×3, first 2 shown]
	v_mul_f64_e32 v[219:220], s[6:7], v[68:69]
	v_fma_f64 v[94:95], v[193:194], s[2:3], v[158:159]
	v_mul_f64_e32 v[158:159], s[6:7], v[54:55]
	v_mul_f64_e32 v[193:194], s[12:13], v[124:125]
	;; [unrolled: 1-line block ×3, first 2 shown]
	v_fma_f64 v[58:59], v[229:230], s[2:3], v[58:59]
	v_fma_f64 v[132:133], v[231:232], s[6:7], v[132:133]
	;; [unrolled: 1-line block ×5, first 2 shown]
	v_add_nc_u32_e32 v229, 0x1000, v235
	v_add_nc_u32_e32 v230, 0x800, v233
	v_fma_f64 v[70:71], v[120:121], s[2:3], v[70:71]
	s_wait_alu 0xfffe
	v_mul_f64_e32 v[68:69], s[0:1], v[68:69]
	v_mul_f64_e32 v[54:55], s[18:19], v[54:55]
	;; [unrolled: 1-line block ×4, first 2 shown]
	v_fma_f64 v[48:49], v[86:87], s[14:15], v[48:49]
	v_add_f64_e32 v[2:3], v[12:13], v[2:3]
	v_fma_f64 v[122:123], v[76:77], s[2:3], v[122:123]
	v_fma_f64 v[6:7], v[76:77], s[2:3], v[6:7]
	;; [unrolled: 1-line block ×6, first 2 shown]
	v_mul_f64_e32 v[156:157], s[6:7], v[175:176]
	v_fma_f64 v[177:178], v[223:224], s[2:3], v[185:186]
	v_fma_f64 v[44:45], v[223:224], s[2:3], v[44:45]
	v_add_f64_e32 v[223:224], v[154:155], v[38:39]
	v_fma_f64 v[166:167], v[62:63], s[0:1], v[219:220]
	v_fma_f64 v[219:220], v[66:67], s[0:1], v[225:226]
	;; [unrolled: 1-line block ×5, first 2 shown]
	v_mul_f64_e32 v[185:186], s[12:13], v[58:59]
	v_add_f64_e32 v[225:226], v[118:119], v[215:216]
	v_fma_f64 v[132:133], v[130:131], s[2:3], v[132:133]
	v_add_f64_e64 v[221:222], v[146:147], -v[144:145]
	v_add_f64_e64 v[146:147], v[144:145], -v[146:147]
	;; [unrolled: 1-line block ×8, first 2 shown]
	v_add_f64_e32 v[34:35], v[40:41], v[34:35]
	v_add_f64_e64 v[40:41], v[82:83], -v[140:141]
	v_mul_f64_e32 v[181:182], s[12:13], v[164:165]
	v_fma_f64 v[116:117], v[130:131], s[2:3], v[116:117]
	v_mul_f64_e32 v[58:59], s[16:17], v[58:59]
	v_fma_f64 v[62:63], v[62:63], s[10:11], v[68:69]
	v_add_f64_e32 v[68:69], v[100:101], v[90:91]
	v_fma_f64 v[54:55], v[94:95], s[10:11], v[54:55]
	v_add_f64_e32 v[136:137], v[170:171], v[84:85]
	v_add_f64_e32 v[144:145], v[72:73], v[96:97]
	v_add_f64_e64 v[84:85], v[170:171], -v[84:85]
	v_add_f64_e64 v[72:73], v[72:73], -v[96:97]
	v_add_f64_e32 v[154:155], v[4:5], v[166:167]
	v_add_f64_e64 v[4:5], v[4:5], -v[166:167]
	v_add_f64_e32 v[96:97], v[76:77], v[158:159]
	v_add_f64_e32 v[166:167], v[122:123], v[193:194]
	;; [unrolled: 1-line block ×4, first 2 shown]
	v_fma_f64 v[183:184], v[44:45], s[16:17], v[185:186]
	v_fma_f64 v[185:186], v[152:153], s[14:15], v[108:109]
	ds_store_2addr_b64 v235, v[223:224], v[225:226] offset1:75
	v_fma_f64 v[223:224], v[160:161], s[12:13], v[98:99]
	v_fma_f64 v[98:99], v[160:161], s[14:15], v[98:99]
	;; [unrolled: 1-line block ×3, first 2 shown]
	v_mul_f64_e32 v[156:157], s[6:7], v[56:57]
	v_fma_f64 v[108:109], v[152:153], s[12:13], v[108:109]
	v_add_f64_e64 v[225:226], v[20:21], -v[28:29]
	v_add_f64_e64 v[76:77], v[76:77], -v[158:159]
	v_fma_f64 v[158:159], v[150:151], s[14:15], v[110:111]
	v_fma_f64 v[110:111], v[150:151], s[12:13], v[110:111]
	v_add_f64_e64 v[122:123], v[122:123], -v[193:194]
	v_fma_f64 v[193:194], v[162:163], s[12:13], v[112:113]
	v_fma_f64 v[112:113], v[162:163], s[14:15], v[112:113]
	v_add_f64_e64 v[6:7], v[6:7], -v[217:218]
	v_fma_f64 v[217:218], v[80:81], s[14:15], v[126:127]
	ds_store_2addr_b64 v235, v[136:137], v[144:145] offset0:150 offset1:225
	ds_store_2addr_b64 v236, v[154:155], v[38:39] offset0:44 offset1:119
	ds_store_2addr_b64 v234, v[118:119], v[84:85] offset0:66 offset1:141
	ds_store_2addr_b64 v229, v[72:73], v[4:5] offset0:88 offset1:163
	ds_store_2addr_b64 v233, v[114:115], v[96:97] offset1:75
	ds_store_2addr_b64 v233, v[166:167], v[170:171] offset0:150 offset1:225
	ds_store_2addr_b64 v230, v[215:216], v[42:43] offset0:44 offset1:119
	v_fma_f64 v[4:5], v[80:81], s[12:13], v[126:127]
	v_add_f64_e64 v[38:39], v[28:29], -v[20:21]
	v_fma_f64 v[42:43], v[120:121], s[2:3], v[52:53]
	v_fma_f64 v[52:53], v[36:37], s[12:13], v[128:129]
	v_add_f64_e32 v[40:41], v[187:188], v[40:41]
	v_mul_f64_e32 v[118:119], s[18:19], v[189:190]
	v_fma_f64 v[181:182], v[177:178], s[2:3], v[181:182]
	v_fma_f64 v[120:121], v[160:161], s[10:11], v[185:186]
	v_add_f64_e32 v[26:27], v[148:149], v[26:27]
	v_fma_f64 v[126:127], v[152:153], s[10:11], v[223:224]
	v_fma_f64 v[98:99], v[152:153], s[6:7], v[98:99]
	v_mul_f64_e32 v[128:129], s[2:3], v[168:169]
	v_fma_f64 v[96:97], v[116:117], s[0:1], v[156:157]
	v_fma_f64 v[108:109], v[160:161], s[6:7], v[108:109]
	v_add_f64_e32 v[92:93], v[221:222], v[92:93]
	v_add_f64_e32 v[14:15], v[146:147], v[14:15]
	v_fma_f64 v[136:137], v[162:163], s[10:11], v[158:159]
	v_fma_f64 v[110:111], v[162:163], s[6:7], v[110:111]
	v_add_f64_e32 v[28:29], v[34:35], v[28:29]
	v_fma_f64 v[134:135], v[150:151], s[10:11], v[193:194]
	v_fma_f64 v[22:23], v[150:151], s[6:7], v[112:113]
	v_mul_f64_e32 v[112:113], s[2:3], v[124:125]
	v_add_f64_e32 v[124:125], v[142:143], v[225:226]
	v_fma_f64 v[140:141], v[36:37], s[10:11], v[217:218]
	v_mul_f64_e32 v[34:35], s[18:19], v[175:176]
	v_mul_f64_e32 v[56:57], s[0:1], v[56:57]
	v_add_f64_e64 v[74:75], v[74:75], -v[219:220]
	v_add_f64_e32 v[72:73], v[24:25], v[10:11]
	v_add_f64_e32 v[84:85], v[70:71], v[130:131]
	;; [unrolled: 1-line block ×3, first 2 shown]
	v_add_f64_e64 v[10:11], v[24:25], -v[10:11]
	v_add_f64_e64 v[0:1], v[0:1], -v[183:184]
	v_fma_f64 v[4:5], v[36:37], s[6:7], v[4:5]
	v_add_f64_e32 v[18:19], v[88:89], v[38:39]
	v_mul_f64_e32 v[38:39], s[2:3], v[164:165]
	v_fma_f64 v[36:37], v[80:81], s[10:11], v[52:53]
	v_fma_f64 v[52:53], v[80:81], s[6:7], v[60:61]
	;; [unrolled: 1-line block ×3, first 2 shown]
	v_add_f64_e32 v[102:103], v[106:107], v[181:182]
	v_fma_f64 v[80:81], v[40:41], s[2:3], v[120:121]
	v_add_f64_e64 v[60:61], v[70:71], -v[130:131]
	v_fma_f64 v[82:83], v[26:27], s[2:3], v[126:127]
	v_fma_f64 v[26:27], v[26:27], s[2:3], v[98:99]
	;; [unrolled: 1-line block ×3, first 2 shown]
	v_add_f64_e32 v[24:25], v[42:43], v[96:97]
	v_fma_f64 v[40:41], v[40:41], s[2:3], v[108:109]
	v_add_f64_e64 v[70:71], v[106:107], -v[181:182]
	v_add_f64_e64 v[42:43], v[42:43], -v[96:97]
	v_fma_f64 v[86:87], v[92:93], s[2:3], v[136:137]
	v_fma_f64 v[16:17], v[92:93], s[2:3], v[110:111]
	v_add_f64_e32 v[20:21], v[28:29], v[20:21]
	v_fma_f64 v[90:91], v[14:15], s[2:3], v[134:135]
	v_fma_f64 v[14:15], v[14:15], s[2:3], v[22:23]
	;; [unrolled: 1-line block ×7, first 2 shown]
	v_add3_u32 v121, 0, v238, v138
	v_add_nc_u32_e32 v120, 0x1000, v233
	ds_store_2addr_b64 v237, v[76:77], v[122:123] offset0:66 offset1:141
	ds_store_2addr_b64 v120, v[6:7], v[74:75] offset0:88 offset1:163
	v_add_nc_u32_e32 v122, 0x800, v121
	v_add_nc_u32_e32 v123, 0xc00, v121
	v_fma_f64 v[4:5], v[124:125], s[2:3], v[4:5]
	v_add_nc_u32_e32 v124, 0x1000, v121
	ds_store_2addr_b64 v121, v[72:73], v[84:85] offset1:75
	ds_store_2addr_b64 v121, v[102:103], v[114:115] offset0:150 offset1:225
	ds_store_2addr_b64 v122, v[24:25], v[10:11] offset0:44 offset1:119
	;; [unrolled: 1-line block ×4, first 2 shown]
	v_fma_f64 v[34:35], v[18:19], s[2:3], v[36:37]
	v_fma_f64 v[36:37], v[177:178], s[14:15], v[38:39]
	;; [unrolled: 1-line block ×5, first 2 shown]
	v_add_f64_e32 v[60:61], v[78:79], v[30:31]
	v_add_f64_e32 v[64:65], v[80:81], v[32:33]
	;; [unrolled: 1-line block ×4, first 2 shown]
	v_add_f64_e64 v[72:73], v[78:79], -v[30:31]
	v_add_f64_e32 v[74:75], v[40:41], v[62:63]
	v_add_f64_e64 v[76:77], v[80:81], -v[32:33]
	v_add_f64_e64 v[78:79], v[82:83], -v[88:89]
	;; [unrolled: 1-line block ×4, first 2 shown]
	v_add_f64_e32 v[82:83], v[68:69], v[8:9]
	v_add_f64_e64 v[68:69], v[68:69], -v[8:9]
	v_add_f64_e32 v[84:85], v[86:87], v[54:55]
	v_add_f64_e64 v[86:87], v[86:87], -v[54:55]
	;; [unrolled: 2-line block ×7, first 2 shown]
	global_wb scope:SCOPE_SE
	s_wait_dscnt 0x0
	s_barrier_signal -1
	s_barrier_wait -1
	global_inv scope:SCOPE_SE
	v_add_f64_e32 v[108:109], v[34:35], v[36:37]
	v_add_f64_e64 v[110:111], v[34:35], -v[36:37]
	v_add_f64_e32 v[112:113], v[18:19], v[38:39]
	v_add_f64_e32 v[114:115], v[4:5], v[44:45]
	v_add_f64_e64 v[116:117], v[18:19], -v[38:39]
	v_add_f64_e64 v[118:119], v[4:5], -v[44:45]
	ds_load_2addr_b64 v[0:3], v195 offset1:125
	ds_load_2addr_b64 v[12:15], v200 offset0:110 offset1:235
	ds_load_2addr_b64 v[20:23], v201 offset0:92 offset1:217
	;; [unrolled: 1-line block ×14, first 2 shown]
	global_wb scope:SCOPE_SE
	s_wait_dscnt 0x0
	s_barrier_signal -1
	s_barrier_wait -1
	global_inv scope:SCOPE_SE
	ds_store_2addr_b64 v235, v[60:61], v[64:65] offset1:75
	ds_store_2addr_b64 v235, v[66:67], v[70:71] offset0:150 offset1:225
	ds_store_2addr_b64 v236, v[74:75], v[72:73] offset0:44 offset1:119
	ds_store_2addr_b64 v234, v[76:77], v[78:79] offset0:66 offset1:141
	ds_store_2addr_b64 v229, v[80:81], v[62:63] offset0:88 offset1:163
	ds_store_2addr_b64 v233, v[82:83], v[84:85] offset1:75
	ds_store_2addr_b64 v233, v[88:89], v[92:93] offset0:150 offset1:225
	ds_store_2addr_b64 v230, v[96:97], v[68:69] offset0:44 offset1:119
	ds_store_2addr_b64 v237, v[86:87], v[90:91] offset0:66 offset1:141
	ds_store_2addr_b64 v120, v[94:95], v[98:99] offset0:88 offset1:163
	;; [unrolled: 5-line block ×3, first 2 shown]
	global_wb scope:SCOPE_SE
	s_wait_dscnt 0x0
	s_barrier_signal -1
	s_barrier_wait -1
	global_inv scope:SCOPE_SE
	s_and_saveexec_b32 s0, vcc_lo
	s_cbranch_execz .LBB0_13
; %bb.12:
	v_dual_mov_b32 v175, v139 :: v_dual_lshlrev_b32 v138, 2, v211
	s_delay_alu instid0(VALU_DEP_1) | instskip(SKIP_1) | instid1(VALU_DEP_1)
	v_lshlrev_b64_e32 v[60:61], 4, v[138:139]
	v_lshlrev_b32_e32 v138, 2, v210
	v_lshlrev_b64_e32 v[62:63], 4, v[138:139]
	s_delay_alu instid0(VALU_DEP_3) | instskip(SKIP_1) | instid1(VALU_DEP_4)
	v_add_co_u32 v80, vcc_lo, s4, v60
	s_wait_alu 0xfffd
	v_add_co_ci_u32_e32 v81, vcc_lo, s5, v61, vcc_lo
	v_lshlrev_b32_e32 v138, 2, v214
	s_delay_alu instid0(VALU_DEP_4) | instskip(SKIP_2) | instid1(VALU_DEP_3)
	v_add_co_u32 v88, vcc_lo, s4, v62
	s_wait_alu 0xfffd
	v_add_co_ci_u32_e32 v89, vcc_lo, s5, v63, vcc_lo
	v_lshlrev_b64_e32 v[92:93], 4, v[138:139]
	s_clause 0x7
	global_load_b128 v[76:79], v[80:81], off offset:11968
	global_load_b128 v[72:75], v[88:89], off offset:11968
	;; [unrolled: 1-line block ×8, first 2 shown]
	v_add_co_u32 v92, vcc_lo, s4, v92
	s_wait_alu 0xfffd
	v_add_co_ci_u32_e32 v93, vcc_lo, s5, v93, vcc_lo
	v_lshlrev_b32_e32 v138, 2, v213
	s_clause 0x3
	global_load_b128 v[120:123], v[92:93], off offset:11968
	global_load_b128 v[112:115], v[92:93], off offset:11952
	;; [unrolled: 1-line block ×4, first 2 shown]
	v_lshlrev_b64_e32 v[94:95], 4, v[138:139]
	v_lshlrev_b32_e32 v138, 2, v212
	s_delay_alu instid0(VALU_DEP_1) | instskip(SKIP_1) | instid1(VALU_DEP_4)
	v_lshlrev_b64_e32 v[124:125], 4, v[138:139]
	v_lshlrev_b32_e32 v138, 2, v174
	v_add_co_u32 v104, vcc_lo, s4, v94
	s_wait_alu 0xfffd
	v_add_co_ci_u32_e32 v105, vcc_lo, s5, v95, vcc_lo
	s_delay_alu instid0(VALU_DEP_4)
	v_add_co_u32 v136, vcc_lo, s4, v124
	v_lshlrev_b64_e32 v[144:145], 4, v[138:139]
	s_wait_alu 0xfffd
	v_add_co_ci_u32_e32 v137, vcc_lo, s5, v125, vcc_lo
	s_clause 0x7
	global_load_b128 v[100:103], v[104:105], off offset:11968
	global_load_b128 v[96:99], v[104:105], off offset:11952
	;; [unrolled: 1-line block ×8, first 2 shown]
	v_add_co_u32 v136, vcc_lo, s4, v144
	s_wait_alu 0xfffd
	v_add_co_ci_u32_e32 v137, vcc_lo, s5, v145, vcc_lo
	s_clause 0x3
	global_load_b128 v[144:147], v[136:137], off offset:11968
	global_load_b128 v[148:151], v[136:137], off offset:11952
	;; [unrolled: 1-line block ×4, first 2 shown]
	ds_load_2addr_b64 v[160:163], v208 offset0:80 offset1:205
	ds_load_2addr_b64 v[164:167], v209 offset0:62 offset1:187
	;; [unrolled: 1-line block ×8, first 2 shown]
	v_add_co_u32 v194, vcc_lo, s8, v172
	ds_load_2addr_b64 v[206:209], v201 offset0:92 offset1:217
	s_wait_alu 0xfffd
	v_add_co_ci_u32_e32 v201, vcc_lo, s9, v173, vcc_lo
	ds_load_2addr_b64 v[212:215], v200 offset0:110 offset1:235
	v_mul_hi_u32 v138, 0x57619f1, v210
	s_delay_alu instid0(VALU_DEP_1) | instskip(NEXT) | instid1(VALU_DEP_1)
	v_lshrrev_b32_e32 v138, 4, v138
	v_mul_u32_u24_e32 v138, 0xbb8, v138
	s_wait_loadcnt 0x17
	v_mul_f64_e32 v[136:137], v[58:59], v[78:79]
	s_wait_dscnt 0x9
	v_mul_f64_e32 v[78:79], v[162:163], v[78:79]
	s_wait_loadcnt 0x16
	v_mul_f64_e32 v[192:193], v[56:57], v[74:75]
	v_mul_f64_e32 v[216:217], v[160:161], v[74:75]
	s_wait_loadcnt 0x15
	v_mul_f64_e32 v[218:219], v[54:55], v[70:71]
	s_wait_dscnt 0x8
	v_mul_f64_e32 v[70:71], v[166:167], v[70:71]
	s_wait_loadcnt 0x14
	v_mul_f64_e32 v[220:221], v[52:53], v[66:67]
	v_mul_f64_e32 v[66:67], v[164:165], v[66:67]
	v_lshlrev_b64_e32 v[74:75], 4, v[174:175]
	s_wait_loadcnt 0x13
	v_mul_f64_e32 v[174:175], v[50:51], v[62:63]
	s_wait_dscnt 0x7
	v_mul_f64_e32 v[62:63], v[170:171], v[62:63]
	s_wait_loadcnt 0x12
	v_mul_f64_e32 v[172:173], v[48:49], v[86:87]
	v_mul_f64_e32 v[86:87], v[168:169], v[86:87]
	s_wait_loadcnt 0x11
	v_mul_f64_e32 v[222:223], v[46:47], v[82:83]
	s_wait_dscnt 0x6
	v_mul_f64_e32 v[82:83], v[178:179], v[82:83]
	v_add_co_u32 v200, vcc_lo, v194, v74
	v_mul_hi_u32 v194, 0x57619f1, v211
	s_wait_loadcnt 0xc
	v_mul_f64_e32 v[210:211], v[42:43], v[118:119]
	s_wait_alu 0xfffd
	v_add_co_ci_u32_e32 v201, vcc_lo, v201, v75, vcc_lo
	v_fma_f64 v[136:137], v[76:77], v[162:163], -v[136:137]
	v_fma_f64 v[58:59], v[58:59], v[76:77], v[78:79]
	v_mul_f64_e32 v[78:79], v[44:45], v[90:91]
	v_mul_f64_e32 v[90:91], v[176:177], v[90:91]
	v_fma_f64 v[192:193], v[72:73], v[160:161], -v[192:193]
	v_fma_f64 v[56:57], v[56:57], v[72:73], v[216:217]
	v_mul_f64_e32 v[72:73], v[38:39], v[122:123]
	s_wait_dscnt 0x5
	v_mul_f64_e32 v[122:123], v[182:183], v[122:123]
	v_fma_f64 v[54:55], v[54:55], v[68:69], v[70:71]
	s_wait_dscnt 0x3
	v_mul_f64_e32 v[70:71], v[190:191], v[118:119]
	ds_load_2addr_b64 v[74:77], v199 offset0:74 offset1:199
	ds_load_2addr_b64 v[160:163], v198 offset0:56 offset1:181
	v_mul_f64_e32 v[198:199], v[30:31], v[114:115]
	v_fma_f64 v[166:167], v[68:69], v[166:167], -v[218:219]
	v_mul_f64_e32 v[68:69], v[34:35], v[110:111]
	v_fma_f64 v[118:119], v[64:65], v[164:165], -v[220:221]
	v_mul_f64_e32 v[114:115], v[186:187], v[114:115]
	s_wait_dscnt 0x4
	v_mul_f64_e32 v[110:111], v[204:205], v[110:111]
	v_fma_f64 v[64:65], v[52:53], v[64:65], v[66:67]
	s_wait_loadcnt 0xb
	v_mul_f64_e32 v[52:53], v[36:37], v[102:103]
	s_wait_loadcnt 0xa
	v_mul_f64_e32 v[66:67], v[28:29], v[98:99]
	;; [unrolled: 2-line block ×3, first 2 shown]
	v_mul_f64_e32 v[216:217], v[32:33], v[94:95]
	v_fma_f64 v[170:171], v[60:61], v[170:171], -v[174:175]
	v_fma_f64 v[60:61], v[50:51], v[60:61], v[62:63]
	v_mul_f64_e32 v[62:63], v[180:181], v[102:103]
	v_mul_f64_e32 v[102:103], v[188:189], v[106:107]
	v_fma_f64 v[106:107], v[84:85], v[168:169], -v[172:173]
	v_mul_f64_e32 v[98:99], v[184:185], v[98:99]
	v_mul_f64_e32 v[94:95], v[202:203], v[94:95]
	v_fma_f64 v[84:85], v[48:49], v[84:85], v[86:87]
	s_wait_loadcnt 0x7
	v_mul_f64_e32 v[86:87], v[22:23], v[126:127]
	s_wait_loadcnt 0x6
	v_mul_f64_e32 v[168:169], v[14:15], v[130:131]
	;; [unrolled: 2-line block ×4, first 2 shown]
	v_fma_f64 v[178:179], v[80:81], v[178:179], -v[222:223]
	v_fma_f64 v[80:81], v[46:47], v[80:81], v[82:83]
	s_wait_dscnt 0x3
	v_mul_f64_e32 v[82:83], v[208:209], v[126:127]
	s_wait_dscnt 0x1
	v_mul_f64_e32 v[126:127], v[76:77], v[134:135]
	;; [unrolled: 2-line block ×3, first 2 shown]
	v_fma_f64 v[78:79], v[88:89], v[176:177], -v[78:79]
	v_fma_f64 v[88:89], v[44:45], v[88:89], v[90:91]
	s_wait_loadcnt 0x3
	v_mul_f64_e32 v[90:91], v[20:21], v[146:147]
	s_wait_loadcnt 0x2
	v_mul_f64_e32 v[142:143], v[12:13], v[150:151]
	;; [unrolled: 2-line block ×4, first 2 shown]
	v_fma_f64 v[72:73], v[120:121], v[182:183], -v[72:73]
	v_fma_f64 v[38:39], v[38:39], v[120:121], v[122:123]
	v_mul_f64_e32 v[120:121], v[206:207], v[146:147]
	v_mul_f64_e32 v[122:123], v[74:75], v[154:155]
	v_fma_f64 v[146:147], v[116:117], v[190:191], -v[210:211]
	v_fma_f64 v[70:71], v[42:43], v[116:117], v[70:71]
	v_mul_f64_e32 v[116:117], v[212:213], v[150:151]
	v_mul_f64_e32 v[150:151], v[160:161], v[158:159]
	;; [unrolled: 1-line block ×3, first 2 shown]
	v_fma_f64 v[154:155], v[112:113], v[186:187], -v[198:199]
	v_fma_f64 v[30:31], v[30:31], v[112:113], v[114:115]
	v_fma_f64 v[68:69], v[108:109], v[204:205], -v[68:69]
	v_fma_f64 v[34:35], v[34:35], v[108:109], v[110:111]
	v_fma_f64 v[108:109], v[100:101], v[180:181], -v[52:53]
	v_fma_f64 v[66:67], v[96:97], v[184:185], -v[66:67]
	;; [unrolled: 1-line block ×4, first 2 shown]
	v_fma_f64 v[36:37], v[36:37], v[100:101], v[62:63]
	v_fma_f64 v[40:41], v[40:41], v[104:105], v[102:103]
	v_add_f64_e64 v[104:105], v[170:171], -v[136:137]
	v_fma_f64 v[28:29], v[28:29], v[96:97], v[98:99]
	v_fma_f64 v[32:33], v[32:33], v[92:93], v[94:95]
	v_lshrrev_b32_e32 v42, 4, v194
	v_fma_f64 v[62:63], v[124:125], v[208:209], -v[86:87]
	v_fma_f64 v[86:87], v[128:129], v[214:215], -v[168:169]
	v_fma_f64 v[76:77], v[132:133], v[76:77], -v[172:173]
	v_fma_f64 v[92:93], v[140:141], v[162:163], -v[174:175]
	v_add_f64_e64 v[98:99], v[166:167], -v[178:179]
	v_add_f64_e32 v[102:103], v[170:171], v[178:179]
	v_fma_f64 v[22:23], v[22:23], v[124:125], v[82:83]
	v_fma_f64 v[26:27], v[26:27], v[132:133], v[126:127]
	;; [unrolled: 1-line block ×3, first 2 shown]
	v_add_f64_e64 v[114:115], v[178:179], -v[166:167]
	v_add_f64_e32 v[126:127], v[60:61], v[80:81]
	v_fma_f64 v[18:19], v[144:145], v[206:207], -v[90:91]
	v_fma_f64 v[90:91], v[148:149], v[212:213], -v[142:143]
	;; [unrolled: 1-line block ×4, first 2 shown]
	v_add_f64_e32 v[132:133], v[58:59], v[54:55]
	v_add_f64_e32 v[164:165], v[84:85], v[88:89]
	v_fma_f64 v[20:21], v[20:21], v[144:145], v[120:121]
	v_fma_f64 v[24:25], v[24:25], v[152:153], v[122:123]
	v_add_f64_e32 v[144:145], v[106:107], v[78:79]
	v_add_f64_e32 v[152:153], v[192:193], v[118:119]
	v_fma_f64 v[12:13], v[12:13], v[148:149], v[116:117]
	v_fma_f64 v[96:97], v[16:17], v[156:157], v[150:151]
	v_add_f64_e64 v[16:17], v[136:137], -v[170:171]
	v_add_f64_e32 v[116:117], v[136:137], v[166:167]
	v_fma_f64 v[14:15], v[14:15], v[128:129], v[130:131]
	v_add_f64_e64 v[122:123], v[58:59], -v[60:61]
	v_add_f64_e64 v[124:125], v[54:55], -v[80:81]
	;; [unrolled: 1-line block ×4, first 2 shown]
	v_lshlrev_b64_e32 v[158:159], 4, v[138:139]
	v_mul_u32_u24_e32 v138, 0xbb8, v42
	ds_load_2addr_b64 v[42:45], v197 offset0:116 offset1:241
	ds_load_2addr_b64 v[46:49], v196 offset0:122 offset1:247
	ds_load_2addr_b64 v[50:53], v195 offset1:125
	v_add_f64_e32 v[172:173], v[56:57], v[64:65]
	v_add_f64_e32 v[180:181], v[154:155], v[68:69]
	;; [unrolled: 1-line block ×12, first 2 shown]
	v_add_f64_e64 v[140:141], v[192:193], -v[106:107]
	v_add_f64_e64 v[142:143], v[118:119], -v[78:79]
	;; [unrolled: 1-line block ×4, first 2 shown]
	v_add_f64_e32 v[214:215], v[18:19], v[74:75]
	v_add_f64_e32 v[212:213], v[90:91], v[94:95]
	s_wait_dscnt 0x2
	v_add_f64_e32 v[120:121], v[170:171], v[44:45]
	v_add_f64_e32 v[156:157], v[106:107], v[42:43]
	v_add_f64_e64 v[160:161], v[56:57], -v[84:85]
	v_add_f64_e64 v[162:163], v[64:65], -v[88:89]
	v_add_f64_e32 v[176:177], v[8:9], v[84:85]
	v_add_f64_e64 v[188:189], v[72:73], -v[154:155]
	v_add_f64_e64 v[190:191], v[146:147], -v[68:69]
	;; [unrolled: 1-line block ×4, first 2 shown]
	v_fma_f64 v[102:103], v[102:103], -0.5, v[44:45]
	v_fma_f64 v[44:45], v[116:117], -0.5, v[44:45]
	;; [unrolled: 1-line block ×4, first 2 shown]
	v_add_f64_e64 v[152:153], v[36:37], -v[28:29]
	v_fma_f64 v[126:127], v[126:127], -0.5, v[10:11]
	v_fma_f64 v[10:11], v[132:133], -0.5, v[10:11]
	;; [unrolled: 1-line block ×3, first 2 shown]
	v_add_f64_e64 v[164:165], v[40:41], -v[32:33]
	v_add_f64_e32 v[98:99], v[16:17], v[98:99]
	v_add_f64_e64 v[16:17], v[86:87], -v[62:63]
	v_add_f64_e32 v[236:237], v[104:105], v[114:115]
	v_add_f64_e64 v[104:105], v[92:93], -v[76:77]
	v_add_f64_e64 v[168:169], v[84:85], -v[56:57]
	;; [unrolled: 1-line block ×3, first 2 shown]
	v_add_f64_e32 v[122:123], v[122:123], v[124:125]
	v_add_f64_e64 v[114:115], v[22:23], -v[14:15]
	v_add_f64_e32 v[124:125], v[128:129], v[130:131]
	v_add_f64_e64 v[128:129], v[26:27], -v[82:83]
	s_wait_dscnt 0x1
	v_add_f64_e32 v[216:217], v[154:155], v[48:49]
	v_add_f64_e64 v[218:219], v[38:39], -v[30:31]
	v_add_f64_e64 v[220:221], v[70:71], -v[34:35]
	;; [unrolled: 1-line block ×4, first 2 shown]
	v_add_f64_e32 v[226:227], v[6:7], v[30:31]
	v_add_f64_e32 v[144:145], v[66:67], v[46:47]
	v_fma_f64 v[8:9], v[172:173], -0.5, v[8:9]
	v_add_f64_e64 v[172:173], v[28:29], -v[36:37]
	v_fma_f64 v[180:181], v[180:181], -0.5, v[48:49]
	v_fma_f64 v[48:49], v[182:183], -0.5, v[48:49]
	;; [unrolled: 1-line block ×4, first 2 shown]
	v_add_f64_e64 v[184:185], v[32:33], -v[40:41]
	v_add_f64_e32 v[186:187], v[4:5], v[28:29]
	v_fma_f64 v[194:195], v[194:195], -0.5, v[6:7]
	v_fma_f64 v[6:7], v[196:197], -0.5, v[6:7]
	;; [unrolled: 1-line block ×4, first 2 shown]
	v_add_f64_e64 v[198:199], v[62:63], -v[86:87]
	s_wait_dscnt 0x0
	v_add_f64_e32 v[202:203], v[86:87], v[52:53]
	v_fma_f64 v[208:209], v[208:209], -0.5, v[52:53]
	v_fma_f64 v[52:53], v[210:211], -0.5, v[52:53]
	;; [unrolled: 1-line block ×4, first 2 shown]
	v_add_f64_e64 v[214:215], v[76:77], -v[92:93]
	v_add_f64_e64 v[100:101], v[58:59], -v[54:55]
	;; [unrolled: 1-line block ×7, first 2 shown]
	v_add_f64_e32 v[120:121], v[136:137], v[120:121]
	v_add_f64_e32 v[58:59], v[58:59], v[134:135]
	v_add_f64_e32 v[140:141], v[140:141], v[142:143]
	v_add_f64_e32 v[142:143], v[14:15], v[82:83]
	v_add_f64_e32 v[170:171], v[22:23], v[26:27]
	v_add_f64_e32 v[50:51], v[90:91], v[50:51]
	v_add_f64_e64 v[136:137], v[136:137], -v[166:167]
	v_add_f64_e64 v[134:135], v[56:57], -v[64:65]
	v_add_f64_e32 v[148:149], v[148:149], v[150:151]
	v_add_f64_e64 v[150:151], v[14:15], -v[22:23]
	v_add_f64_e32 v[160:161], v[160:161], v[162:163]
	;; [unrolled: 2-line block ×3, first 2 shown]
	v_add_f64_e32 v[176:177], v[188:189], v[190:191]
	v_add_f64_e64 v[188:189], v[18:19], -v[90:91]
	v_add_f64_e32 v[190:191], v[204:205], v[206:207]
	v_add_f64_e64 v[204:205], v[74:75], -v[94:95]
	v_add_f64_e32 v[152:153], v[152:153], v[164:165]
	v_add_f64_e32 v[164:165], v[12:13], v[96:97]
	;; [unrolled: 1-line block ×6, first 2 shown]
	v_add_f64_e64 v[60:61], v[60:61], -v[80:81]
	v_add_f64_e32 v[114:115], v[114:115], v[128:129]
	v_add_f64_e32 v[128:129], v[0:1], v[12:13]
	v_add_f64_e64 v[84:85], v[84:85], -v[88:89]
	v_add_f64_e32 v[206:207], v[218:219], v[220:221]
	v_add_f64_e64 v[218:219], v[90:91], -v[18:19]
	;; [unrolled: 2-line block ×5, first 2 shown]
	v_add_f64_e64 v[106:107], v[106:107], -v[78:79]
	v_add_f64_e32 v[156:157], v[192:193], v[156:157]
	v_add_f64_e32 v[224:225], v[228:229], v[230:231]
	v_add_f64_e64 v[228:229], v[20:21], -v[12:13]
	v_add_f64_e32 v[230:231], v[232:233], v[234:235]
	v_add_f64_e64 v[28:29], v[28:29], -v[32:33]
	v_add_f64_e64 v[66:67], v[66:67], -v[112:113]
	v_add_f64_e32 v[144:145], v[108:109], v[144:145]
	v_add_f64_e64 v[108:109], v[108:109], -v[110:111]
	;; [unrolled: 3-line block ×3, first 2 shown]
	v_fma_f64 v[12:13], v[142:143], -0.5, v[2:3]
	v_fma_f64 v[142:143], v[170:171], -0.5, v[2:3]
	v_add_f64_e32 v[2:3], v[166:167], v[120:121]
	v_add_f64_e32 v[54:55], v[58:59], v[54:55]
	v_add_f64_e64 v[232:233], v[24:25], -v[96:97]
	v_add_f64_e64 v[30:31], v[30:31], -v[34:35]
	;; [unrolled: 1-line block ×3, first 2 shown]
	v_add_f64_e32 v[216:217], v[72:73], v[216:217]
	v_add_f64_e64 v[192:193], v[192:193], -v[118:119]
	v_add_f64_e32 v[226:227], v[38:39], v[226:227]
	v_add_f64_e64 v[72:73], v[72:73], -v[146:147]
	v_add_f64_e32 v[186:187], v[36:37], v[186:187]
	v_add_f64_e64 v[36:37], v[36:37], -v[40:41]
	v_add_f64_e64 v[38:39], v[38:39], -v[70:71]
	v_add_f64_e32 v[150:151], v[150:151], v[162:163]
	v_add_f64_e64 v[162:163], v[22:23], -v[26:27]
	v_add_f64_e64 v[90:91], v[90:91], -v[94:95]
	v_add_f64_e32 v[188:189], v[188:189], v[204:205]
	v_add_f64_e64 v[204:205], v[18:19], -v[74:75]
	v_add_f64_e32 v[18:19], v[18:19], v[50:51]
	v_fma_f64 v[50:51], v[164:165], -0.5, v[0:1]
	v_fma_f64 v[16:17], v[16:17], -0.5, v[0:1]
	v_fma_f64 v[58:59], v[100:101], s[14:15], v[102:103]
	v_fma_f64 v[102:103], v[100:101], s[12:13], v[102:103]
	;; [unrolled: 1-line block ×4, first 2 shown]
	v_add_f64_e64 v[86:87], v[86:87], -v[92:93]
	v_add_f64_e64 v[62:63], v[62:63], -v[76:77]
	v_add_f64_e32 v[22:23], v[22:23], v[174:175]
	v_add_f64_e64 v[174:175], v[20:21], -v[24:25]
	v_add_f64_e32 v[20:21], v[20:21], v[128:129]
	v_fma_f64 v[128:129], v[60:61], s[12:13], v[44:45]
	v_fma_f64 v[44:45], v[60:61], s[14:15], v[44:45]
	v_add_f64_e32 v[170:171], v[218:219], v[222:223]
	v_add_f64_e32 v[120:121], v[184:185], v[214:215]
	v_fma_f64 v[184:185], v[134:135], s[14:15], v[116:117]
	v_fma_f64 v[116:117], v[134:135], s[12:13], v[116:117]
	;; [unrolled: 1-line block ×3, first 2 shown]
	v_add_f64_e32 v[118:119], v[118:119], v[156:157]
	v_fma_f64 v[222:223], v[106:107], s[14:15], v[8:9]
	v_add_f64_e32 v[110:111], v[110:111], v[144:145]
	v_fma_f64 v[144:145], v[28:29], s[12:13], v[46:47]
	v_fma_f64 v[46:47], v[28:29], s[14:15], v[46:47]
	v_add_f64_e32 v[2:3], v[178:179], v[2:3]
	v_add_f64_e32 v[0:1], v[54:55], v[80:81]
	v_fma_f64 v[54:55], v[108:109], s[12:13], v[196:197]
	v_fma_f64 v[80:81], v[108:109], s[14:15], v[196:197]
	v_fma_f64 v[178:179], v[66:67], s[14:15], v[4:5]
	v_fma_f64 v[196:197], v[66:67], s[12:13], v[4:5]
	v_add_f64_e32 v[218:219], v[228:229], v[232:233]
	v_fma_f64 v[166:167], v[130:131], s[14:15], v[10:11]
	v_fma_f64 v[10:11], v[130:131], s[12:13], v[10:11]
	v_fma_f64 v[228:229], v[30:31], s[12:13], v[48:49]
	v_fma_f64 v[48:49], v[30:31], s[14:15], v[48:49]
	;; [unrolled: 5-line block ×3, first 2 shown]
	v_fma_f64 v[216:217], v[72:73], s[12:13], v[194:195]
	v_add_f64_e32 v[70:71], v[226:227], v[70:71]
	v_fma_f64 v[226:227], v[36:37], s[14:15], v[182:183]
	v_fma_f64 v[182:183], v[36:37], s[12:13], v[182:183]
	v_fma_f64 v[132:133], v[192:193], s[14:15], v[132:133]
	v_add_f64_e32 v[56:57], v[56:57], v[64:65]
	v_fma_f64 v[64:65], v[38:39], s[14:15], v[180:181]
	v_fma_f64 v[180:181], v[38:39], s[12:13], v[180:181]
	;; [unrolled: 4-line block ×3, first 2 shown]
	v_fma_f64 v[60:61], v[60:61], s[10:11], v[102:103]
	v_fma_f64 v[102:103], v[202:203], s[12:13], v[212:213]
	;; [unrolled: 1-line block ×6, first 2 shown]
	v_add_f64_e32 v[76:77], v[76:77], v[14:15]
	v_fma_f64 v[240:241], v[234:235], s[12:13], v[52:53]
	v_fma_f64 v[52:53], v[234:235], s[14:15], v[52:53]
	v_add_f64_e32 v[22:23], v[22:23], v[26:27]
	v_fma_f64 v[26:27], v[62:63], s[12:13], v[12:13]
	v_fma_f64 v[244:245], v[86:87], s[14:15], v[142:143]
	;; [unrolled: 1-line block ×3, first 2 shown]
	v_add_f64_e32 v[20:21], v[20:21], v[24:25]
	v_fma_f64 v[24:25], v[174:175], s[14:15], v[210:211]
	v_fma_f64 v[210:211], v[174:175], s[12:13], v[210:211]
	;; [unrolled: 1-line block ×10, first 2 shown]
	v_add_f64_e32 v[74:75], v[74:75], v[18:19]
	v_fma_f64 v[184:185], v[84:85], s[6:7], v[184:185]
	v_fma_f64 v[84:85], v[84:85], s[10:11], v[116:117]
	v_fma_f64 v[116:117], v[134:135], s[6:7], v[214:215]
	v_add_f64_e32 v[6:7], v[78:79], v[118:119]
	v_fma_f64 v[78:79], v[192:193], s[10:11], v[222:223]
	v_fma_f64 v[144:145], v[36:37], s[6:7], v[144:145]
	v_fma_f64 v[36:37], v[36:37], s[10:11], v[46:47]
	;; [unrolled: 4-line block ×3, first 2 shown]
	v_fma_f64 v[136:137], v[136:137], s[6:7], v[10:11]
	v_fma_f64 v[48:49], v[38:39], s[10:11], v[48:49]
	v_add_f64_e32 v[10:11], v[68:69], v[146:147]
	v_fma_f64 v[146:147], v[72:73], s[10:11], v[232:233]
	v_fma_f64 v[72:73], v[72:73], s[6:7], v[238:239]
	;; [unrolled: 1-line block ×5, first 2 shown]
	v_add_f64_e32 v[8:9], v[70:71], v[34:35]
	v_fma_f64 v[70:71], v[28:29], s[6:7], v[226:227]
	v_fma_f64 v[28:29], v[28:29], s[10:11], v[182:183]
	v_fma_f64 v[80:81], v[66:67], s[6:7], v[80:81]
	v_fma_f64 v[132:133], v[106:107], s[6:7], v[132:133]
	v_add_f64_e32 v[4:5], v[56:57], v[88:89]
	v_fma_f64 v[56:57], v[30:31], s[6:7], v[64:65]
	v_fma_f64 v[64:65], v[30:31], s[10:11], v[180:181]
	v_fma_f64 v[106:107], v[154:155], s[6:7], v[194:195]
	v_fma_f64 v[110:111], v[66:67], s[10:11], v[54:55]
	v_fma_f64 v[88:89], v[38:39], s[6:7], v[228:229]
	v_add_f64_e32 v[12:13], v[40:41], v[32:33]
	v_fma_f64 v[32:33], v[234:235], s[6:7], v[186:187]
	;; [unrolled: 6-line block ×3, first 2 shown]
	v_fma_f64 v[142:143], v[62:63], s[6:7], v[142:143]
	v_fma_f64 v[182:183], v[202:203], s[10:11], v[210:211]
	;; [unrolled: 1-line block ×11, first 2 shown]
	v_add_f64_e32 v[16:17], v[22:23], v[82:83]
	v_add_f64_e32 v[22:23], v[94:95], v[74:75]
	;; [unrolled: 1-line block ×3, first 2 shown]
	v_fma_f64 v[46:47], v[148:149], s[2:3], v[116:117]
	v_fma_f64 v[44:45], v[168:169], s[2:3], v[78:79]
	;; [unrolled: 1-line block ×48, first 2 shown]
	v_lshlrev_b64_e32 v[138:139], 4, v[138:139]
	v_add_co_u32 v120, vcc_lo, v200, v158
	s_wait_alu 0xfffd
	v_add_co_ci_u32_e32 v121, vcc_lo, v201, v159, vcc_lo
	s_delay_alu instid0(VALU_DEP_3)
	v_add_co_u32 v122, vcc_lo, v200, v138
	s_wait_alu 0xfffd
	v_add_co_ci_u32_e32 v123, vcc_lo, v201, v139, vcc_lo
	s_clause 0x1d
	global_store_b128 v[200:201], v[12:15], off offset:4000
	global_store_b128 v[200:201], v[8:11], off offset:6000
	global_store_b128 v[200:201], v[20:23], off
	global_store_b128 v[200:201], v[16:19], off offset:2000
	global_store_b128 v[120:121], v[44:47], off offset:56000
	;; [unrolled: 1-line block ×27, first 2 shown]
.LBB0_13:
	s_nop 0
	s_sendmsg sendmsg(MSG_DEALLOC_VGPRS)
	s_endpgm
	.section	.rodata,"a",@progbits
	.p2align	6, 0x0
	.amdhsa_kernel fft_rtc_back_len3750_factors_3_5_5_10_5_wgs_125_tpt_125_halfLds_dp_ip_CI_unitstride_sbrr_dirReg
		.amdhsa_group_segment_fixed_size 0
		.amdhsa_private_segment_fixed_size 0
		.amdhsa_kernarg_size 88
		.amdhsa_user_sgpr_count 2
		.amdhsa_user_sgpr_dispatch_ptr 0
		.amdhsa_user_sgpr_queue_ptr 0
		.amdhsa_user_sgpr_kernarg_segment_ptr 1
		.amdhsa_user_sgpr_dispatch_id 0
		.amdhsa_user_sgpr_private_segment_size 0
		.amdhsa_wavefront_size32 1
		.amdhsa_uses_dynamic_stack 0
		.amdhsa_enable_private_segment 0
		.amdhsa_system_sgpr_workgroup_id_x 1
		.amdhsa_system_sgpr_workgroup_id_y 0
		.amdhsa_system_sgpr_workgroup_id_z 0
		.amdhsa_system_sgpr_workgroup_info 0
		.amdhsa_system_vgpr_workitem_id 0
		.amdhsa_next_free_vgpr 248
		.amdhsa_next_free_sgpr 32
		.amdhsa_reserve_vcc 1
		.amdhsa_float_round_mode_32 0
		.amdhsa_float_round_mode_16_64 0
		.amdhsa_float_denorm_mode_32 3
		.amdhsa_float_denorm_mode_16_64 3
		.amdhsa_fp16_overflow 0
		.amdhsa_workgroup_processor_mode 1
		.amdhsa_memory_ordered 1
		.amdhsa_forward_progress 0
		.amdhsa_round_robin_scheduling 0
		.amdhsa_exception_fp_ieee_invalid_op 0
		.amdhsa_exception_fp_denorm_src 0
		.amdhsa_exception_fp_ieee_div_zero 0
		.amdhsa_exception_fp_ieee_overflow 0
		.amdhsa_exception_fp_ieee_underflow 0
		.amdhsa_exception_fp_ieee_inexact 0
		.amdhsa_exception_int_div_zero 0
	.end_amdhsa_kernel
	.text
.Lfunc_end0:
	.size	fft_rtc_back_len3750_factors_3_5_5_10_5_wgs_125_tpt_125_halfLds_dp_ip_CI_unitstride_sbrr_dirReg, .Lfunc_end0-fft_rtc_back_len3750_factors_3_5_5_10_5_wgs_125_tpt_125_halfLds_dp_ip_CI_unitstride_sbrr_dirReg
                                        ; -- End function
	.section	.AMDGPU.csdata,"",@progbits
; Kernel info:
; codeLenInByte = 21484
; NumSgprs: 34
; NumVgprs: 248
; ScratchSize: 0
; MemoryBound: 1
; FloatMode: 240
; IeeeMode: 1
; LDSByteSize: 0 bytes/workgroup (compile time only)
; SGPRBlocks: 4
; VGPRBlocks: 30
; NumSGPRsForWavesPerEU: 34
; NumVGPRsForWavesPerEU: 248
; Occupancy: 5
; WaveLimiterHint : 1
; COMPUTE_PGM_RSRC2:SCRATCH_EN: 0
; COMPUTE_PGM_RSRC2:USER_SGPR: 2
; COMPUTE_PGM_RSRC2:TRAP_HANDLER: 0
; COMPUTE_PGM_RSRC2:TGID_X_EN: 1
; COMPUTE_PGM_RSRC2:TGID_Y_EN: 0
; COMPUTE_PGM_RSRC2:TGID_Z_EN: 0
; COMPUTE_PGM_RSRC2:TIDIG_COMP_CNT: 0
	.text
	.p2alignl 7, 3214868480
	.fill 96, 4, 3214868480
	.type	__hip_cuid_ceb81ca942c739e4,@object ; @__hip_cuid_ceb81ca942c739e4
	.section	.bss,"aw",@nobits
	.globl	__hip_cuid_ceb81ca942c739e4
__hip_cuid_ceb81ca942c739e4:
	.byte	0                               ; 0x0
	.size	__hip_cuid_ceb81ca942c739e4, 1

	.ident	"AMD clang version 19.0.0git (https://github.com/RadeonOpenCompute/llvm-project roc-6.4.0 25133 c7fe45cf4b819c5991fe208aaa96edf142730f1d)"
	.section	".note.GNU-stack","",@progbits
	.addrsig
	.addrsig_sym __hip_cuid_ceb81ca942c739e4
	.amdgpu_metadata
---
amdhsa.kernels:
  - .args:
      - .actual_access:  read_only
        .address_space:  global
        .offset:         0
        .size:           8
        .value_kind:     global_buffer
      - .offset:         8
        .size:           8
        .value_kind:     by_value
      - .actual_access:  read_only
        .address_space:  global
        .offset:         16
        .size:           8
        .value_kind:     global_buffer
      - .actual_access:  read_only
        .address_space:  global
        .offset:         24
        .size:           8
        .value_kind:     global_buffer
      - .offset:         32
        .size:           8
        .value_kind:     by_value
      - .actual_access:  read_only
        .address_space:  global
        .offset:         40
        .size:           8
        .value_kind:     global_buffer
      - .actual_access:  read_only
        .address_space:  global
        .offset:         48
        .size:           8
        .value_kind:     global_buffer
      - .offset:         56
        .size:           4
        .value_kind:     by_value
      - .actual_access:  read_only
        .address_space:  global
        .offset:         64
        .size:           8
        .value_kind:     global_buffer
      - .actual_access:  read_only
        .address_space:  global
        .offset:         72
        .size:           8
        .value_kind:     global_buffer
      - .address_space:  global
        .offset:         80
        .size:           8
        .value_kind:     global_buffer
    .group_segment_fixed_size: 0
    .kernarg_segment_align: 8
    .kernarg_segment_size: 88
    .language:       OpenCL C
    .language_version:
      - 2
      - 0
    .max_flat_workgroup_size: 125
    .name:           fft_rtc_back_len3750_factors_3_5_5_10_5_wgs_125_tpt_125_halfLds_dp_ip_CI_unitstride_sbrr_dirReg
    .private_segment_fixed_size: 0
    .sgpr_count:     34
    .sgpr_spill_count: 0
    .symbol:         fft_rtc_back_len3750_factors_3_5_5_10_5_wgs_125_tpt_125_halfLds_dp_ip_CI_unitstride_sbrr_dirReg.kd
    .uniform_work_group_size: 1
    .uses_dynamic_stack: false
    .vgpr_count:     248
    .vgpr_spill_count: 0
    .wavefront_size: 32
    .workgroup_processor_mode: 1
amdhsa.target:   amdgcn-amd-amdhsa--gfx1201
amdhsa.version:
  - 1
  - 2
...

	.end_amdgpu_metadata
